;; amdgpu-corpus repo=ROCm/rocFFT kind=compiled arch=gfx1030 opt=O3
	.text
	.amdgcn_target "amdgcn-amd-amdhsa--gfx1030"
	.amdhsa_code_object_version 6
	.protected	fft_rtc_back_len1925_factors_7_11_5_5_wgs_55_tpt_55_halfLds_sp_ip_CI_unitstride_sbrr_dirReg ; -- Begin function fft_rtc_back_len1925_factors_7_11_5_5_wgs_55_tpt_55_halfLds_sp_ip_CI_unitstride_sbrr_dirReg
	.globl	fft_rtc_back_len1925_factors_7_11_5_5_wgs_55_tpt_55_halfLds_sp_ip_CI_unitstride_sbrr_dirReg
	.p2align	8
	.type	fft_rtc_back_len1925_factors_7_11_5_5_wgs_55_tpt_55_halfLds_sp_ip_CI_unitstride_sbrr_dirReg,@function
fft_rtc_back_len1925_factors_7_11_5_5_wgs_55_tpt_55_halfLds_sp_ip_CI_unitstride_sbrr_dirReg: ; @fft_rtc_back_len1925_factors_7_11_5_5_wgs_55_tpt_55_halfLds_sp_ip_CI_unitstride_sbrr_dirReg
; %bb.0:
	s_clause 0x2
	s_load_dwordx4 s[8:11], s[4:5], 0x0
	s_load_dwordx2 s[2:3], s[4:5], 0x50
	s_load_dwordx2 s[12:13], s[4:5], 0x18
	v_mul_u32_u24_e32 v1, 0x4a8, v0
	v_mov_b32_e32 v3, 0
	v_add_nc_u32_sdwa v5, s6, v1 dst_sel:DWORD dst_unused:UNUSED_PAD src0_sel:DWORD src1_sel:WORD_1
	v_mov_b32_e32 v1, 0
	v_mov_b32_e32 v6, v3
	v_mov_b32_e32 v2, 0
	s_waitcnt lgkmcnt(0)
	v_cmp_lt_u64_e64 s0, s[10:11], 2
	s_and_b32 vcc_lo, exec_lo, s0
	s_cbranch_vccnz .LBB0_8
; %bb.1:
	s_load_dwordx2 s[0:1], s[4:5], 0x10
	v_mov_b32_e32 v1, 0
	s_add_u32 s6, s12, 8
	v_mov_b32_e32 v2, 0
	s_addc_u32 s7, s13, 0
	s_mov_b64 s[16:17], 1
	s_waitcnt lgkmcnt(0)
	s_add_u32 s14, s0, 8
	s_addc_u32 s15, s1, 0
.LBB0_2:                                ; =>This Inner Loop Header: Depth=1
	s_load_dwordx2 s[18:19], s[14:15], 0x0
                                        ; implicit-def: $vgpr8_vgpr9
	s_mov_b32 s0, exec_lo
	s_waitcnt lgkmcnt(0)
	v_or_b32_e32 v4, s19, v6
	v_cmpx_ne_u64_e32 0, v[3:4]
	s_xor_b32 s1, exec_lo, s0
	s_cbranch_execz .LBB0_4
; %bb.3:                                ;   in Loop: Header=BB0_2 Depth=1
	v_cvt_f32_u32_e32 v4, s18
	v_cvt_f32_u32_e32 v7, s19
	s_sub_u32 s0, 0, s18
	s_subb_u32 s20, 0, s19
	v_fmac_f32_e32 v4, 0x4f800000, v7
	v_rcp_f32_e32 v4, v4
	v_mul_f32_e32 v4, 0x5f7ffffc, v4
	v_mul_f32_e32 v7, 0x2f800000, v4
	v_trunc_f32_e32 v7, v7
	v_fmac_f32_e32 v4, 0xcf800000, v7
	v_cvt_u32_f32_e32 v7, v7
	v_cvt_u32_f32_e32 v4, v4
	v_mul_lo_u32 v8, s0, v7
	v_mul_hi_u32 v9, s0, v4
	v_mul_lo_u32 v10, s20, v4
	v_add_nc_u32_e32 v8, v9, v8
	v_mul_lo_u32 v9, s0, v4
	v_add_nc_u32_e32 v8, v8, v10
	v_mul_hi_u32 v10, v4, v9
	v_mul_lo_u32 v11, v4, v8
	v_mul_hi_u32 v12, v4, v8
	v_mul_hi_u32 v13, v7, v9
	v_mul_lo_u32 v9, v7, v9
	v_mul_hi_u32 v14, v7, v8
	v_mul_lo_u32 v8, v7, v8
	v_add_co_u32 v10, vcc_lo, v10, v11
	v_add_co_ci_u32_e32 v11, vcc_lo, 0, v12, vcc_lo
	v_add_co_u32 v9, vcc_lo, v10, v9
	v_add_co_ci_u32_e32 v9, vcc_lo, v11, v13, vcc_lo
	v_add_co_ci_u32_e32 v10, vcc_lo, 0, v14, vcc_lo
	v_add_co_u32 v8, vcc_lo, v9, v8
	v_add_co_ci_u32_e32 v9, vcc_lo, 0, v10, vcc_lo
	v_add_co_u32 v4, vcc_lo, v4, v8
	v_add_co_ci_u32_e32 v7, vcc_lo, v7, v9, vcc_lo
	v_mul_hi_u32 v8, s0, v4
	v_mul_lo_u32 v10, s20, v4
	v_mul_lo_u32 v9, s0, v7
	v_add_nc_u32_e32 v8, v8, v9
	v_mul_lo_u32 v9, s0, v4
	v_add_nc_u32_e32 v8, v8, v10
	v_mul_hi_u32 v10, v4, v9
	v_mul_lo_u32 v11, v4, v8
	v_mul_hi_u32 v12, v4, v8
	v_mul_hi_u32 v13, v7, v9
	v_mul_lo_u32 v9, v7, v9
	v_mul_hi_u32 v14, v7, v8
	v_mul_lo_u32 v8, v7, v8
	v_add_co_u32 v10, vcc_lo, v10, v11
	v_add_co_ci_u32_e32 v11, vcc_lo, 0, v12, vcc_lo
	v_add_co_u32 v9, vcc_lo, v10, v9
	v_add_co_ci_u32_e32 v9, vcc_lo, v11, v13, vcc_lo
	v_add_co_ci_u32_e32 v10, vcc_lo, 0, v14, vcc_lo
	v_add_co_u32 v8, vcc_lo, v9, v8
	v_add_co_ci_u32_e32 v9, vcc_lo, 0, v10, vcc_lo
	v_add_co_u32 v4, vcc_lo, v4, v8
	v_add_co_ci_u32_e32 v11, vcc_lo, v7, v9, vcc_lo
	v_mul_hi_u32 v13, v5, v4
	v_mad_u64_u32 v[9:10], null, v6, v4, 0
	v_mad_u64_u32 v[7:8], null, v5, v11, 0
	;; [unrolled: 1-line block ×3, first 2 shown]
	v_add_co_u32 v4, vcc_lo, v13, v7
	v_add_co_ci_u32_e32 v7, vcc_lo, 0, v8, vcc_lo
	v_add_co_u32 v4, vcc_lo, v4, v9
	v_add_co_ci_u32_e32 v4, vcc_lo, v7, v10, vcc_lo
	v_add_co_ci_u32_e32 v7, vcc_lo, 0, v12, vcc_lo
	v_add_co_u32 v4, vcc_lo, v4, v11
	v_add_co_ci_u32_e32 v9, vcc_lo, 0, v7, vcc_lo
	v_mul_lo_u32 v10, s19, v4
	v_mad_u64_u32 v[7:8], null, s18, v4, 0
	v_mul_lo_u32 v11, s18, v9
	v_sub_co_u32 v7, vcc_lo, v5, v7
	v_add3_u32 v8, v8, v11, v10
	v_sub_nc_u32_e32 v10, v6, v8
	v_subrev_co_ci_u32_e64 v10, s0, s19, v10, vcc_lo
	v_add_co_u32 v11, s0, v4, 2
	v_add_co_ci_u32_e64 v12, s0, 0, v9, s0
	v_sub_co_u32 v13, s0, v7, s18
	v_sub_co_ci_u32_e32 v8, vcc_lo, v6, v8, vcc_lo
	v_subrev_co_ci_u32_e64 v10, s0, 0, v10, s0
	v_cmp_le_u32_e32 vcc_lo, s18, v13
	v_cmp_eq_u32_e64 s0, s19, v8
	v_cndmask_b32_e64 v13, 0, -1, vcc_lo
	v_cmp_le_u32_e32 vcc_lo, s19, v10
	v_cndmask_b32_e64 v14, 0, -1, vcc_lo
	v_cmp_le_u32_e32 vcc_lo, s18, v7
	;; [unrolled: 2-line block ×3, first 2 shown]
	v_cndmask_b32_e64 v15, 0, -1, vcc_lo
	v_cmp_eq_u32_e32 vcc_lo, s19, v10
	v_cndmask_b32_e64 v7, v15, v7, s0
	v_cndmask_b32_e32 v10, v14, v13, vcc_lo
	v_add_co_u32 v13, vcc_lo, v4, 1
	v_add_co_ci_u32_e32 v14, vcc_lo, 0, v9, vcc_lo
	v_cmp_ne_u32_e32 vcc_lo, 0, v10
	v_cndmask_b32_e32 v8, v14, v12, vcc_lo
	v_cndmask_b32_e32 v10, v13, v11, vcc_lo
	v_cmp_ne_u32_e32 vcc_lo, 0, v7
	v_cndmask_b32_e32 v9, v9, v8, vcc_lo
	v_cndmask_b32_e32 v8, v4, v10, vcc_lo
.LBB0_4:                                ;   in Loop: Header=BB0_2 Depth=1
	s_andn2_saveexec_b32 s0, s1
	s_cbranch_execz .LBB0_6
; %bb.5:                                ;   in Loop: Header=BB0_2 Depth=1
	v_cvt_f32_u32_e32 v4, s18
	s_sub_i32 s1, 0, s18
	v_rcp_iflag_f32_e32 v4, v4
	v_mul_f32_e32 v4, 0x4f7ffffe, v4
	v_cvt_u32_f32_e32 v4, v4
	v_mul_lo_u32 v7, s1, v4
	v_mul_hi_u32 v7, v4, v7
	v_add_nc_u32_e32 v4, v4, v7
	v_mul_hi_u32 v4, v5, v4
	v_mul_lo_u32 v7, v4, s18
	v_add_nc_u32_e32 v8, 1, v4
	v_sub_nc_u32_e32 v7, v5, v7
	v_subrev_nc_u32_e32 v9, s18, v7
	v_cmp_le_u32_e32 vcc_lo, s18, v7
	v_cndmask_b32_e32 v7, v7, v9, vcc_lo
	v_cndmask_b32_e32 v4, v4, v8, vcc_lo
	v_mov_b32_e32 v9, v3
	v_cmp_le_u32_e32 vcc_lo, s18, v7
	v_add_nc_u32_e32 v8, 1, v4
	v_cndmask_b32_e32 v8, v4, v8, vcc_lo
.LBB0_6:                                ;   in Loop: Header=BB0_2 Depth=1
	s_or_b32 exec_lo, exec_lo, s0
	s_load_dwordx2 s[0:1], s[6:7], 0x0
	v_mul_lo_u32 v4, v9, s18
	v_mul_lo_u32 v7, v8, s19
	v_mad_u64_u32 v[10:11], null, v8, s18, 0
	s_add_u32 s16, s16, 1
	s_addc_u32 s17, s17, 0
	s_add_u32 s6, s6, 8
	s_addc_u32 s7, s7, 0
	;; [unrolled: 2-line block ×3, first 2 shown]
	v_add3_u32 v4, v11, v7, v4
	v_sub_co_u32 v5, vcc_lo, v5, v10
	v_sub_co_ci_u32_e32 v4, vcc_lo, v6, v4, vcc_lo
	s_waitcnt lgkmcnt(0)
	v_mul_lo_u32 v6, s1, v5
	v_mul_lo_u32 v4, s0, v4
	v_mad_u64_u32 v[1:2], null, s0, v5, v[1:2]
	v_cmp_ge_u64_e64 s0, s[16:17], s[10:11]
	s_and_b32 vcc_lo, exec_lo, s0
	v_add3_u32 v2, v6, v2, v4
	s_cbranch_vccnz .LBB0_9
; %bb.7:                                ;   in Loop: Header=BB0_2 Depth=1
	v_mov_b32_e32 v5, v8
	v_mov_b32_e32 v6, v9
	s_branch .LBB0_2
.LBB0_8:
	v_mov_b32_e32 v9, v6
	v_mov_b32_e32 v8, v5
.LBB0_9:
	s_lshl_b64 s[0:1], s[10:11], 3
	s_load_dwordx2 s[4:5], s[4:5], 0x20
	s_add_u32 s0, s12, s0
	s_addc_u32 s1, s13, s1
	v_mul_hi_u32 v3, 0x4a7904b, v0
	s_load_dwordx2 s[0:1], s[0:1], 0x0
	v_mov_b32_e32 v96, 0
	v_mov_b32_e32 v97, 0
	;; [unrolled: 1-line block ×17, first 2 shown]
	s_waitcnt lgkmcnt(0)
	v_cmp_gt_u64_e32 vcc_lo, s[4:5], v[8:9]
	v_mov_b32_e32 v47, v96
	v_mul_lo_u32 v6, s0, v9
	v_mul_lo_u32 v7, s1, v8
	v_mad_u64_u32 v[4:5], null, s0, v8, v[1:2]
	v_mul_u32_u24_e32 v1, 55, v3
	v_mov_b32_e32 v2, v96
	v_mov_b32_e32 v106, v96
	v_mov_b32_e32 v98, v96
	v_mov_b32_e32 v91, v97
	v_sub_nc_u32_e32 v32, v0, v1
	v_add3_u32 v5, v7, v5, v6
	v_mov_b32_e32 v6, v96
	v_mov_b32_e32 v0, v96
	;; [unrolled: 1-line block ×4, first 2 shown]
	v_lshlrev_b64 v[34:35], 3, v[4:5]
	v_mov_b32_e32 v83, v97
	v_mov_b32_e32 v81, v97
	;; [unrolled: 1-line block ×14, first 2 shown]
                                        ; implicit-def: $vgpr109
                                        ; implicit-def: $vgpr111
                                        ; implicit-def: $vgpr101
                                        ; implicit-def: $vgpr105
                                        ; implicit-def: $vgpr71
                                        ; implicit-def: $vgpr77
                                        ; implicit-def: $vgpr79
                                        ; implicit-def: $vgpr60
                                        ; implicit-def: $vgpr64
                                        ; implicit-def: $vgpr50
                                        ; implicit-def: $vgpr95
                                        ; implicit-def: $vgpr87
                                        ; implicit-def: $vgpr85
                                        ; implicit-def: $vgpr103
                                        ; implicit-def: $vgpr113
	s_and_saveexec_b32 s1, vcc_lo
	s_cbranch_execz .LBB0_11
; %bb.10:
	v_mov_b32_e32 v33, 0
	v_add_co_u32 v2, s0, s2, v34
	v_add_co_ci_u32_e64 v3, s0, s3, v35, s0
	v_lshlrev_b64 v[0:1], 3, v[32:33]
	v_add_co_u32 v0, s0, v2, v0
	v_add_co_ci_u32_e64 v1, s0, v3, v1, s0
	v_add_co_u32 v2, s0, 0x800, v0
	v_add_co_ci_u32_e64 v3, s0, 0, v1, s0
	;; [unrolled: 2-line block ×7, first 2 shown]
	v_add_co_u32 v16, s0, 0x3800, v0
	s_clause 0xb
	global_load_dwordx2 v[68:69], v[2:3], off offset:1032
	global_load_dwordx2 v[90:91], v[0:1], off
	global_load_dwordx2 v[80:81], v[0:1], off offset:440
	global_load_dwordx2 v[66:67], v[0:1], off offset:880
	;; [unrolled: 1-line block ×10, first 2 shown]
	v_add_co_ci_u32_e64 v17, s0, 0, v1, s0
	s_clause 0x16
	global_load_dwordx2 v[88:89], v[2:3], off offset:592
	global_load_dwordx2 v[96:97], v[2:3], off offset:152
	;; [unrolled: 1-line block ×23, first 2 shown]
.LBB0_11:
	s_or_b32 exec_lo, exec_lo, s1
	s_waitcnt vmcnt(4)
	v_add_f32_e32 v4, v112, v96
	v_add_f32_e32 v5, v110, v106
	;; [unrolled: 1-line block ×3, first 2 shown]
	v_sub_f32_e32 v9, v107, v111
	v_sub_f32_e32 v10, v99, v109
	;; [unrolled: 1-line block ×3, first 2 shown]
	v_add_f32_e32 v11, v4, v5
	v_sub_f32_e32 v13, v4, v8
	v_sub_f32_e32 v14, v8, v5
	;; [unrolled: 1-line block ×4, first 2 shown]
	v_add_f32_e32 v8, v11, v8
	v_add_f32_e32 v11, v9, v10
	v_sub_f32_e32 v9, v9, v12
	v_sub_f32_e32 v10, v12, v10
	v_mul_f32_e32 v5, 0x3f08b237, v15
	v_add_f32_e32 v15, v8, v90
	v_add_f32_e32 v11, v12, v11
	v_mul_f32_e32 v12, 0x3d64c772, v14
	v_mul_f32_e32 v16, 0x3f4a47b2, v13
	v_mul_f32_e32 v17, 0xbf5ff5aa, v9
	v_fmamk_f32 v14, v10, 0xbeae86e6, v5
	v_fmamk_f32 v8, v8, 0xbf955555, v15
	;; [unrolled: 1-line block ×3, first 2 shown]
	v_fma_f32 v16, 0xbf3bfb3b, v4, -v16
	v_fma_f32 v10, 0x3eae86e6, v10, -v17
	;; [unrolled: 1-line block ×4, first 2 shown]
	v_fmac_f32_e32 v14, 0xbee1c552, v11
	v_add_f32_e32 v13, v13, v8
	v_add_f32_e32 v9, v16, v8
	v_fmac_f32_e32 v10, 0xbee1c552, v11
	v_add_f32_e32 v4, v4, v8
	v_fmac_f32_e32 v5, 0xbee1c552, v11
	v_mad_u32_u24 v90, v32, 28, 0
	v_add_f32_e32 v8, v13, v14
	v_add_f32_e32 v12, v104, v88
	;; [unrolled: 1-line block ×4, first 2 shown]
	v_sub_f32_e32 v17, v4, v5
	ds_write2_b32 v90, v15, v8 offset1:1
	v_add_f32_e32 v8, v102, v82
	v_add_f32_e32 v15, v12, v16
	;; [unrolled: 1-line block ×3, first 2 shown]
	ds_write2_b32 v90, v11, v17 offset0:2 offset1:3
	v_sub_f32_e32 v5, v93, v101
	v_sub_f32_e32 v11, v83, v103
	v_add_f32_e32 v15, v15, v8
	v_sub_f32_e32 v17, v12, v8
	v_sub_f32_e32 v8, v8, v16
	;; [unrolled: 1-line block ×4, first 2 shown]
	v_add_f32_e32 v19, v5, v11
	v_add_f32_e32 v20, v15, v80
	v_mul_f32_e32 v8, 0x3d64c772, v8
	v_sub_f32_e32 v5, v5, v18
	v_sub_f32_e32 v11, v18, v11
	v_mul_f32_e32 v21, 0x3f08b237, v21
	v_add_f32_e32 v19, v18, v19
	v_fmamk_f32 v18, v17, 0x3f4a47b2, v8
	v_sub_f32_e32 v12, v16, v12
	v_mul_f32_e32 v16, 0x3f4a47b2, v17
	v_mul_f32_e32 v17, 0xbf5ff5aa, v5
	v_fmamk_f32 v15, v15, 0xbf955555, v20
	v_fmamk_f32 v22, v11, 0xbeae86e6, v21
	v_fma_f32 v8, 0x3f3bfb3b, v12, -v8
	v_fma_f32 v12, 0xbf3bfb3b, v12, -v16
	;; [unrolled: 1-line block ×4, first 2 shown]
	v_add_f32_e32 v18, v18, v15
	v_fmac_f32_e32 v22, 0xbee1c552, v19
	v_add_f32_e32 v8, v8, v15
	v_add_f32_e32 v12, v12, v15
	v_fmac_f32_e32 v11, 0xbee1c552, v19
	v_fmac_f32_e32 v5, 0xbee1c552, v19
	v_sub_f32_e32 v9, v9, v10
	s_waitcnt vmcnt(2)
	v_add_f32_e32 v17, v94, v68
	v_add_f32_e32 v19, v86, v72
	;; [unrolled: 1-line block ×3, first 2 shown]
	v_add_nc_u32_e32 v80, 0x604, v90
	v_add_f32_e32 v15, v12, v11
	v_sub_f32_e32 v16, v8, v5
	v_add_nc_u32_e32 v114, 0x60c, v90
	ds_write2_b32 v90, v4, v9 offset0:4 offset1:5
	ds_write2_b32 v80, v20, v10 offset1:1
	ds_write2_b32 v114, v15, v16 offset1:1
	v_add_f32_e32 v4, v84, v74
	v_add_f32_e32 v9, v17, v19
	;; [unrolled: 1-line block ×3, first 2 shown]
	v_sub_f32_e32 v8, v12, v11
	v_sub_f32_e32 v10, v73, v87
	;; [unrolled: 1-line block ×3, first 2 shown]
	v_add_f32_e32 v9, v9, v4
	v_sub_f32_e32 v12, v17, v4
	v_sub_f32_e32 v4, v4, v19
	v_sub_f32_e32 v15, v69, v95
	v_sub_f32_e32 v21, v11, v10
	v_add_f32_e32 v16, v10, v11
	v_add_f32_e32 v20, v9, v66
	v_mul_f32_e32 v4, 0x3d64c772, v4
	v_sub_f32_e32 v10, v10, v15
	v_sub_f32_e32 v11, v15, v11
	v_mul_f32_e32 v21, 0x3f08b237, v21
	v_add_f32_e32 v16, v15, v16
	v_fmamk_f32 v15, v12, 0x3f4a47b2, v4
	v_sub_f32_e32 v17, v19, v17
	v_mul_f32_e32 v12, 0x3f4a47b2, v12
	v_mul_f32_e32 v19, 0xbf5ff5aa, v10
	v_fmamk_f32 v9, v9, 0xbf955555, v20
	v_fmamk_f32 v23, v11, 0xbeae86e6, v21
	v_fma_f32 v4, 0x3f3bfb3b, v17, -v4
	v_fma_f32 v12, 0xbf3bfb3b, v17, -v12
	;; [unrolled: 1-line block ×4, first 2 shown]
	v_add_f32_e32 v15, v15, v9
	v_fmac_f32_e32 v23, 0xbee1c552, v16
	v_add_f32_e32 v4, v4, v9
	v_add_f32_e32 v9, v12, v9
	v_fmac_f32_e32 v11, 0xbee1c552, v16
	v_fmac_f32_e32 v10, 0xbee1c552, v16
	v_add_nc_u32_e32 v115, 0x614, v90
	s_waitcnt vmcnt(1)
	v_add_f32_e32 v19, v78, v51
	v_add_f32_e32 v21, v76, v53
	;; [unrolled: 1-line block ×3, first 2 shown]
	v_add_nc_u32_e32 v116, 0xc08, v90
	v_add_f32_e32 v16, v9, v11
	v_sub_f32_e32 v17, v4, v10
	v_add_nc_u32_e32 v117, 0xc10, v90
	ds_write2_b32 v115, v5, v8 offset1:1
	ds_write2_b32 v116, v20, v12 offset1:1
	;; [unrolled: 1-line block ×3, first 2 shown]
	v_add_f32_e32 v5, v70, v57
	v_add_f32_e32 v8, v19, v21
	;; [unrolled: 1-line block ×3, first 2 shown]
	v_sub_f32_e32 v9, v9, v11
	v_sub_f32_e32 v10, v54, v77
	;; [unrolled: 1-line block ×3, first 2 shown]
	v_add_f32_e32 v8, v8, v5
	v_sub_f32_e32 v12, v19, v5
	v_sub_f32_e32 v5, v5, v21
	;; [unrolled: 1-line block ×4, first 2 shown]
	v_add_f32_e32 v17, v10, v11
	v_add_f32_e32 v20, v8, v45
	v_mul_f32_e32 v5, 0x3d64c772, v5
	v_sub_f32_e32 v10, v10, v16
	v_sub_f32_e32 v11, v16, v11
	v_mul_f32_e32 v24, 0x3f08b237, v24
	v_add_f32_e32 v17, v16, v17
	v_fmamk_f32 v16, v12, 0x3f4a47b2, v5
	v_sub_f32_e32 v19, v21, v19
	v_mul_f32_e32 v12, 0x3f4a47b2, v12
	v_mul_f32_e32 v21, 0xbf5ff5aa, v10
	v_fmamk_f32 v8, v8, 0xbf955555, v20
	v_fmamk_f32 v25, v11, 0xbeae86e6, v24
	v_fma_f32 v5, 0x3f3bfb3b, v19, -v5
	v_fma_f32 v12, 0xbf3bfb3b, v19, -v12
	;; [unrolled: 1-line block ×4, first 2 shown]
	v_add_f32_e32 v16, v16, v8
	v_fmac_f32_e32 v25, 0xbee1c552, v17
	v_add_f32_e32 v5, v5, v8
	v_add_f32_e32 v8, v12, v8
	v_fmac_f32_e32 v11, 0xbee1c552, v17
	v_fmac_f32_e32 v10, 0xbee1c552, v17
	v_add_nc_u32_e32 v118, 0xc18, v90
	s_waitcnt vmcnt(0)
	v_add_f32_e32 v21, v63, v2
	v_add_f32_e32 v24, v59, v6
	;; [unrolled: 1-line block ×3, first 2 shown]
	v_add_nc_u32_e32 v119, 0x120c, v90
	v_add_f32_e32 v17, v8, v11
	v_sub_f32_e32 v19, v5, v10
	v_add_nc_u32_e32 v120, 0x1214, v90
	ds_write2_b32 v118, v4, v9 offset1:1
	ds_write2_b32 v119, v20, v12 offset1:1
	;; [unrolled: 1-line block ×3, first 2 shown]
	v_add_f32_e32 v4, v49, v47
	v_add_f32_e32 v9, v21, v24
	;; [unrolled: 1-line block ×3, first 2 shown]
	v_sub_f32_e32 v8, v8, v11
	v_sub_f32_e32 v10, v7, v60
	;; [unrolled: 1-line block ×3, first 2 shown]
	v_add_f32_e32 v9, v9, v4
	v_sub_f32_e32 v12, v21, v4
	v_sub_f32_e32 v4, v4, v24
	;; [unrolled: 1-line block ×4, first 2 shown]
	v_add_f32_e32 v19, v10, v11
	v_add_f32_e32 v0, v9, v0
	v_mul_f32_e32 v4, 0x3d64c772, v4
	v_sub_f32_e32 v10, v10, v17
	v_sub_f32_e32 v11, v17, v11
	v_mul_f32_e32 v20, 0x3f08b237, v20
	v_add_f32_e32 v19, v17, v19
	v_fmamk_f32 v17, v12, 0x3f4a47b2, v4
	v_sub_f32_e32 v21, v24, v21
	v_mul_f32_e32 v12, 0x3f4a47b2, v12
	v_mul_f32_e32 v24, 0xbf5ff5aa, v10
	v_fmamk_f32 v9, v9, 0xbf955555, v0
	v_fmamk_f32 v26, v11, 0xbeae86e6, v20
	v_fma_f32 v4, 0x3f3bfb3b, v21, -v4
	v_fma_f32 v12, 0xbf3bfb3b, v21, -v12
	;; [unrolled: 1-line block ×4, first 2 shown]
	v_add_f32_e32 v17, v17, v9
	v_fmac_f32_e32 v26, 0xbee1c552, v19
	v_add_f32_e32 v20, v4, v9
	v_add_f32_e32 v4, v12, v9
	v_fmac_f32_e32 v11, 0xbee1c552, v19
	v_fmac_f32_e32 v10, 0xbee1c552, v19
	v_add_nc_u32_e32 v121, 0x121c, v90
	v_add_f32_e32 v9, v17, v26
	v_add_nc_u32_e32 v122, 0x1810, v90
	v_lshl_add_u32 v33, v32, 2, 0
	v_add_f32_e32 v12, v4, v11
	v_sub_f32_e32 v19, v20, v10
	v_add_nc_u32_e32 v123, 0x1818, v90
	ds_write2_b32 v121, v5, v8 offset1:1
	ds_write2_b32 v122, v0, v9 offset1:1
	v_sub_f32_e32 v5, v17, v26
	v_sub_f32_e32 v0, v13, v14
	;; [unrolled: 1-line block ×6, first 2 shown]
	v_add_nc_u32_e32 v135, 0x400, v33
	v_add_f32_e32 v10, v20, v10
	v_add_nc_u32_e32 v124, 0x1820, v90
	v_add_nc_u32_e32 v136, 0x600, v33
	ds_write2_b32 v123, v12, v19 offset1:1
	ds_write_b32 v90, v0 offset:24
	ds_write_b32 v90, v8 offset:1564
	ds_write_b32 v90, v9 offset:3104
	ds_write_b32 v90, v11 offset:4644
	ds_write2_b32 v124, v10, v4 offset1:1
	ds_write_b32 v90, v5 offset:6184
	s_waitcnt lgkmcnt(0)
	s_barrier
	buffer_gl0_inv
	v_add_nc_u32_e32 v127, 0x800, v33
	v_add_nc_u32_e32 v128, 0xc00, v33
	;; [unrolled: 1-line block ×8, first 2 shown]
	ds_read_b32 v125, v33 offset:7440
	ds_read2_b32 v[10:11], v33 offset1:55
	ds_read2_b32 v[8:9], v33 offset0:110 offset1:175
	ds_read2_b32 v[65:66], v135 offset0:94 offset1:149
	;; [unrolled: 1-line block ×13, first 2 shown]
	ds_read2_b32 v[26:27], v129 offset1:55
	ds_read2_b32 v[16:17], v130 offset0:94 offset1:149
	v_cmp_gt_u32_e64 s0, 10, v32
                                        ; implicit-def: $vgpr126
                                        ; implicit-def: $vgpr28
                                        ; implicit-def: $vgpr22
                                        ; implicit-def: $vgpr19
                                        ; implicit-def: $vgpr25
	s_and_saveexec_b32 s1, s0
	s_cbranch_execz .LBB0_13
; %bb.12:
	v_add_nc_u32_e32 v0, 0xd00, v33
	v_add_nc_u32_e32 v18, 0x1200, v33
	ds_read2_b32 v[4:5], v131 offset0:37 offset1:212
	ds_read2_b32 v[28:29], v127 offset0:3 offset1:178
	;; [unrolled: 1-line block ×5, first 2 shown]
	ds_read_b32 v126, v33 offset:7660
.LBB0_13:
	s_or_b32 exec_lo, exec_lo, s1
	v_add_f32_e32 v0, v113, v97
	v_add_f32_e32 v97, v111, v107
	v_sub_f32_e32 v96, v96, v112
	v_add_f32_e32 v99, v109, v99
	v_sub_f32_e32 v106, v106, v110
	v_sub_f32_e32 v98, v98, v108
	v_add_f32_e32 v107, v0, v97
	v_add_f32_e32 v89, v105, v89
	;; [unrolled: 1-line block ×3, first 2 shown]
	v_sub_f32_e32 v108, v97, v0
	v_sub_f32_e32 v0, v0, v99
	;; [unrolled: 1-line block ×3, first 2 shown]
	v_add_f32_e32 v109, v106, v98
	v_add_f32_e32 v99, v107, v99
	v_sub_f32_e32 v107, v98, v106
	v_sub_f32_e32 v106, v106, v96
	;; [unrolled: 1-line block ×3, first 2 shown]
	v_add_f32_e32 v83, v103, v83
	v_sub_f32_e32 v92, v92, v100
	v_sub_f32_e32 v82, v82, v102
	v_add_f32_e32 v100, v89, v93
	v_sub_f32_e32 v98, v96, v98
	v_add_f32_e32 v96, v96, v109
	v_add_f32_e32 v91, v99, v91
	v_mul_f32_e32 v97, 0x3d64c772, v97
	v_mul_f32_e32 v109, 0x3f4a47b2, v0
	;; [unrolled: 1-line block ×4, first 2 shown]
	v_sub_f32_e32 v101, v93, v89
	v_sub_f32_e32 v89, v89, v83
	;; [unrolled: 1-line block ×3, first 2 shown]
	v_add_f32_e32 v102, v92, v82
	v_add_f32_e32 v83, v100, v83
	v_sub_f32_e32 v100, v82, v92
	v_sub_f32_e32 v92, v92, v88
	v_fmamk_f32 v99, v99, 0xbf955555, v91
	v_fmamk_f32 v0, v0, 0x3f4a47b2, v97
	v_fma_f32 v97, 0x3f3bfb3b, v108, -v97
	v_fma_f32 v108, 0xbf3bfb3b, v108, -v109
	v_fmamk_f32 v109, v98, 0xbeae86e6, v107
	v_fma_f32 v98, 0x3eae86e6, v98, -v110
	v_sub_f32_e32 v82, v88, v82
	v_add_f32_e32 v88, v88, v102
	v_mul_f32_e32 v93, 0x3d64c772, v93
	v_mul_f32_e32 v102, 0x3f4a47b2, v89
	;; [unrolled: 1-line block ×4, first 2 shown]
	v_fma_f32 v106, 0xbf5ff5aa, v106, -v107
	v_add_f32_e32 v0, v0, v99
	v_add_f32_e32 v97, v97, v99
	;; [unrolled: 1-line block ×3, first 2 shown]
	v_fmac_f32_e32 v109, 0xbee1c552, v96
	v_fmac_f32_e32 v98, 0xbee1c552, v96
	v_fmamk_f32 v89, v89, 0x3f4a47b2, v93
	v_fma_f32 v93, 0x3f3bfb3b, v101, -v93
	v_fma_f32 v101, 0xbf3bfb3b, v101, -v102
	v_fmamk_f32 v102, v82, 0xbeae86e6, v100
	v_fma_f32 v92, 0xbf5ff5aa, v92, -v100
	v_fma_f32 v82, 0x3eae86e6, v82, -v103
	v_fmac_f32_e32 v106, 0xbee1c552, v96
	v_sub_f32_e32 v96, v0, v109
	v_sub_f32_e32 v107, v99, v98
	v_fmac_f32_e32 v102, 0xbee1c552, v88
	v_fmac_f32_e32 v82, 0xbee1c552, v88
	;; [unrolled: 1-line block ×3, first 2 shown]
	v_add_f32_e32 v88, v98, v99
	v_add_f32_e32 v98, v109, v0
	;; [unrolled: 1-line block ×5, first 2 shown]
	v_sub_f32_e32 v72, v72, v86
	v_sub_f32_e32 v74, v74, v84
	;; [unrolled: 1-line block ×3, first 2 shown]
	v_add_f32_e32 v75, v0, v69
	v_sub_f32_e32 v84, v69, v0
	v_sub_f32_e32 v0, v0, v73
	;; [unrolled: 1-line block ×3, first 2 shown]
	v_add_f32_e32 v85, v72, v74
	v_add_f32_e32 v73, v75, v73
	v_sub_f32_e32 v75, v74, v72
	v_sub_f32_e32 v72, v72, v68
	v_mul_f32_e32 v69, 0x3d64c772, v69
	v_sub_f32_e32 v74, v68, v74
	v_add_f32_e32 v67, v73, v67
	v_mul_f32_e32 v75, 0x3f08b237, v75
	v_add_f32_e32 v68, v68, v85
	v_mul_f32_e32 v85, 0x3f4a47b2, v0
	v_mul_f32_e32 v86, 0xbf5ff5aa, v72
	v_fmamk_f32 v73, v73, 0xbf955555, v67
	v_fmamk_f32 v0, v0, 0x3f4a47b2, v69
	v_fma_f32 v69, 0x3f3bfb3b, v84, -v69
	v_fma_f32 v72, 0xbf5ff5aa, v72, -v75
	v_add_f32_e32 v52, v79, v52
	v_add_f32_e32 v54, v77, v54
	;; [unrolled: 1-line block ×3, first 2 shown]
	v_fma_f32 v84, 0xbf3bfb3b, v84, -v85
	v_add_f32_e32 v69, v69, v73
	v_fmac_f32_e32 v72, 0xbee1c552, v68
	v_add_f32_e32 v58, v71, v58
	v_sub_f32_e32 v53, v53, v76
	v_sub_f32_e32 v57, v57, v70
	v_add_f32_e32 v70, v52, v54
	v_fmamk_f32 v83, v83, 0xbf955555, v81
	v_fmamk_f32 v85, v74, 0xbeae86e6, v75
	v_add_f32_e32 v0, v0, v73
	v_add_f32_e32 v73, v84, v73
	;; [unrolled: 1-line block ×3, first 2 shown]
	v_sub_f32_e32 v69, v69, v72
	v_sub_f32_e32 v51, v51, v78
	;; [unrolled: 1-line block ×5, first 2 shown]
	v_add_f32_e32 v72, v53, v57
	v_add_f32_e32 v58, v70, v58
	v_sub_f32_e32 v70, v57, v53
	v_add_f32_e32 v89, v89, v83
	v_add_f32_e32 v93, v93, v83
	;; [unrolled: 1-line block ×3, first 2 shown]
	v_fma_f32 v74, 0x3eae86e6, v74, -v86
	v_fmac_f32_e32 v85, 0xbee1c552, v68
	v_sub_f32_e32 v57, v51, v57
	v_sub_f32_e32 v53, v53, v51
	v_add_f32_e32 v51, v51, v72
	v_mul_f32_e32 v54, 0x3d64c772, v54
	v_mul_f32_e32 v72, 0x3f4a47b2, v52
	;; [unrolled: 1-line block ×3, first 2 shown]
	v_sub_f32_e32 v100, v83, v82
	v_fmac_f32_e32 v74, 0xbee1c552, v68
	v_add_f32_e32 v68, v82, v83
	v_sub_f32_e32 v82, v0, v85
	v_add_f32_e32 v46, v58, v46
	v_mul_f32_e32 v76, 0xbf5ff5aa, v53
	v_fmamk_f32 v52, v52, 0x3f4a47b2, v54
	v_fma_f32 v54, 0x3f3bfb3b, v71, -v54
	v_fma_f32 v71, 0xbf3bfb3b, v71, -v72
	v_fmamk_f32 v72, v57, 0xbeae86e6, v70
	v_fma_f32 v53, 0xbf5ff5aa, v53, -v70
	v_add_f32_e32 v70, v85, v0
	v_add_f32_e32 v0, v64, v3
	;; [unrolled: 1-line block ×3, first 2 shown]
	v_fmamk_f32 v58, v58, 0xbf955555, v46
	v_sub_f32_e32 v2, v2, v63
	v_add_f32_e32 v7, v50, v48
	v_sub_f32_e32 v6, v6, v59
	v_sub_f32_e32 v47, v47, v49
	v_add_f32_e32 v48, v0, v3
	v_fma_f32 v57, 0x3eae86e6, v57, -v76
	v_add_f32_e32 v54, v54, v58
	v_fmac_f32_e32 v53, 0xbee1c552, v51
	v_sub_f32_e32 v49, v3, v0
	v_sub_f32_e32 v0, v0, v7
	;; [unrolled: 1-line block ×3, first 2 shown]
	v_add_f32_e32 v50, v6, v47
	v_add_f32_e32 v7, v48, v7
	v_sub_f32_e32 v48, v47, v6
	v_sub_f32_e32 v6, v6, v2
	;; [unrolled: 1-line block ×3, first 2 shown]
	v_fmac_f32_e32 v72, 0xbee1c552, v51
	v_fmac_f32_e32 v57, 0xbee1c552, v51
	v_add_f32_e32 v51, v74, v73
	v_add_f32_e32 v74, v53, v54
	v_sub_f32_e32 v53, v54, v53
	v_sub_f32_e32 v47, v2, v47
	v_add_f32_e32 v2, v2, v50
	v_add_f32_e32 v50, v7, v1
	v_mul_f32_e32 v1, 0x3d64c772, v3
	v_mul_f32_e32 v3, 0x3f4a47b2, v0
	;; [unrolled: 1-line block ×4, first 2 shown]
	v_fmamk_f32 v7, v7, 0xbf955555, v50
	v_fmamk_f32 v0, v0, 0x3f4a47b2, v1
	v_fma_f32 v1, 0x3f3bfb3b, v49, -v1
	v_fma_f32 v3, 0xbf3bfb3b, v49, -v3
	v_fmamk_f32 v49, v47, 0xbeae86e6, v48
	v_fma_f32 v6, 0xbf5ff5aa, v6, -v48
	v_fma_f32 v47, 0x3eae86e6, v47, -v54
	v_add_f32_e32 v52, v52, v58
	v_add_f32_e32 v58, v71, v58
	v_add_f32_e32 v48, v0, v7
	v_add_f32_e32 v0, v1, v7
	v_add_f32_e32 v1, v3, v7
	v_fmac_f32_e32 v49, 0xbee1c552, v2
	v_fmac_f32_e32 v47, 0xbee1c552, v2
	;; [unrolled: 1-line block ×3, first 2 shown]
	v_add_f32_e32 v108, v106, v97
	v_sub_f32_e32 v97, v97, v106
	v_sub_f32_e32 v99, v89, v102
	v_add_f32_e32 v75, v102, v89
	v_sub_f32_e32 v71, v52, v72
	v_sub_f32_e32 v73, v58, v57
	v_add_f32_e32 v2, v57, v58
	v_add_f32_e32 v3, v72, v52
	v_sub_f32_e32 v7, v48, v49
	v_sub_f32_e32 v52, v1, v47
	v_add_f32_e32 v54, v6, v0
	v_sub_f32_e32 v6, v0, v6
	v_add_f32_e32 v101, v92, v93
	;; [unrolled: 2-line block ×3, first 2 shown]
	v_add_f32_e32 v1, v49, v48
	s_waitcnt lgkmcnt(0)
	s_barrier
	buffer_gl0_inv
	ds_write2_b32 v90, v91, v96 offset1:1
	ds_write2_b32 v90, v107, v108 offset0:2 offset1:3
	ds_write2_b32 v90, v97, v88 offset0:4 offset1:5
	ds_write_b32 v90, v98 offset:24
	ds_write2_b32 v80, v81, v99 offset1:1
	ds_write2_b32 v114, v100, v101 offset1:1
	ds_write2_b32 v115, v92, v68 offset1:1
	ds_write_b32 v90, v75 offset:1564
	ds_write2_b32 v116, v67, v82 offset1:1
	ds_write2_b32 v117, v83, v84 offset1:1
	ds_write2_b32 v118, v69, v51 offset1:1
	;; [unrolled: 4-line block ×4, first 2 shown]
	ds_write_b32 v90, v1 offset:6184
	s_waitcnt lgkmcnt(0)
	s_barrier
	buffer_gl0_inv
	ds_read2_b32 v[6:7], v33 offset1:55
	ds_read2_b32 v[2:3], v33 offset0:110 offset1:175
	ds_read2_b32 v[87:88], v135 offset0:94 offset1:149
	;; [unrolled: 1-line block ×13, first 2 shown]
	ds_read2_b32 v[57:58], v129 offset1:55
	ds_read2_b32 v[50:51], v130 offset0:94 offset1:149
	ds_read_b32 v127, v33 offset:7440
                                        ; implicit-def: $vgpr67
                                        ; implicit-def: $vgpr63
                                        ; implicit-def: $vgpr128
                                        ; implicit-def: $vgpr60
                                        ; implicit-def: $vgpr70
	s_and_saveexec_b32 s1, s0
	s_cbranch_execz .LBB0_15
; %bb.14:
	v_add_nc_u32_e32 v0, 0x200, v33
	v_add_nc_u32_e32 v54, 0x800, v33
	;; [unrolled: 1-line block ×5, first 2 shown]
	ds_read2_b32 v[0:1], v0 offset0:37 offset1:212
	ds_read2_b32 v[67:68], v54 offset0:3 offset1:178
	ds_read2_b32 v[63:64], v59 offset0:33 offset1:208
	ds_read2_b32 v[69:70], v60 offset0:63 offset1:238
	ds_read2_b32 v[59:60], v89 offset0:29 offset1:204
	ds_read_b32 v128, v33 offset:7660
.LBB0_15:
	s_or_b32 exec_lo, exec_lo, s1
	v_and_b32_e32 v54, 0xff, v32
	v_add_nc_u32_e32 v89, 55, v32
	v_mov_b32_e32 v99, 10
	v_mul_lo_u16 v54, v54, 37
	v_and_b32_e32 v91, 0xff, v89
	v_lshrrev_b16 v54, 8, v54
	v_mul_lo_u16 v91, v91, 37
	v_sub_nc_u16 v90, v32, v54
	v_lshrrev_b16 v91, 8, v91
	v_lshrrev_b16 v90, 1, v90
	v_and_b32_e32 v92, 0x7f, v90
	v_add_nc_u32_e32 v90, 0x6e, v32
	v_add_nc_u16 v92, v92, v54
	v_and_b32_e32 v54, 0xff, v90
	v_lshrrev_b16 v114, 2, v92
	v_sub_nc_u16 v92, v89, v91
	v_mul_lo_u16 v93, v54, 37
	v_mul_lo_u16 v94, v114, 7
	v_lshrrev_b16 v92, 1, v92
	v_lshrrev_b16 v93, 8, v93
	v_sub_nc_u16 v116, v32, v94
	v_and_b32_e32 v92, 0x7f, v92
	v_sub_nc_u16 v94, v90, v93
	v_mul_u32_u24_sdwa v95, v116, v99 dst_sel:DWORD dst_unused:UNUSED_PAD src0_sel:BYTE_0 src1_sel:DWORD
	v_add_nc_u16 v91, v92, v91
	v_lshrrev_b16 v92, 1, v94
	v_lshlrev_b32_e32 v94, 3, v95
	v_lshrrev_b16 v117, 2, v91
	v_and_b32_e32 v91, 0x7f, v92
	s_clause 0x1
	global_load_dwordx4 v[95:98], v94, s[8:9]
	global_load_dwordx4 v[104:107], v94, s[8:9] offset:16
	v_add_nc_u16 v91, v91, v93
	v_mul_lo_u16 v92, v117, 7
	global_load_dwordx4 v[109:112], v94, s[8:9] offset:32
	v_lshrrev_b16 v118, 2, v91
	v_sub_nc_u16 v122, v89, v92
	v_mul_lo_u16 v92, v118, 7
	v_mul_u32_u24_sdwa v91, v122, v99 dst_sel:DWORD dst_unused:UNUSED_PAD src0_sel:BYTE_0 src1_sel:DWORD
	v_sub_nc_u16 v120, v90, v92
	v_lshlrev_b32_e32 v100, 3, v91
	v_add_nc_u32_e32 v91, 0xa5, v32
	s_clause 0x1
	global_load_dwordx4 v[129:132], v94, s[8:9] offset:48
	global_load_dwordx4 v[133:136], v100, s[8:9]
	v_mul_u32_u24_sdwa v92, v120, v99 dst_sel:DWORD dst_unused:UNUSED_PAD src0_sel:BYTE_0 src1_sel:DWORD
	s_clause 0x3
	global_load_dwordx4 v[141:144], v100, s[8:9] offset:16
	global_load_dwordx4 v[157:160], v94, s[8:9] offset:64
	;; [unrolled: 1-line block ×4, first 2 shown]
	v_lshlrev_b32_e32 v101, 3, v92
	v_and_b32_e32 v92, 0xff, v91
	s_clause 0x1
	global_load_dwordx4 v[169:172], v100, s[8:9] offset:64
	global_load_dwordx4 v[137:140], v101, s[8:9]
	v_mul_lo_u16 v93, v92, 37
	s_clause 0x2
	global_load_dwordx4 v[145:148], v101, s[8:9] offset:16
	global_load_dwordx4 v[153:156], v101, s[8:9] offset:32
	;; [unrolled: 1-line block ×3, first 2 shown]
	v_lshrrev_b16 v93, 8, v93
	v_sub_nc_u16 v102, v91, v93
	v_lshrrev_b16 v102, 1, v102
	v_and_b32_e32 v102, 0x7f, v102
	v_add_nc_u16 v93, v102, v93
	v_lshrrev_b16 v93, 2, v93
	v_mul_lo_u16 v94, v93, 7
	v_sub_nc_u16 v94, v91, v94
	v_mul_u32_u24_sdwa v99, v94, v99 dst_sel:DWORD dst_unused:UNUSED_PAD src0_sel:BYTE_0 src1_sel:DWORD
	v_lshlrev_b32_e32 v99, 3, v99
	s_clause 0x5
	global_load_dwordx4 v[173:176], v101, s[8:9] offset:64
	global_load_dwordx4 v[177:180], v99, s[8:9]
	global_load_dwordx4 v[181:184], v99, s[8:9] offset:16
	global_load_dwordx4 v[185:188], v99, s[8:9] offset:32
	;; [unrolled: 1-line block ×4, first 2 shown]
	s_waitcnt vmcnt(0) lgkmcnt(0)
	s_barrier
	buffer_gl0_inv
	v_mul_f32_e32 v119, v3, v96
	v_mul_f32_e32 v96, v9, v96
	;; [unrolled: 1-line block ×6, first 2 shown]
	v_fma_f32 v121, v3, v95, -v96
	v_mul_f32_e32 v3, v44, v107
	v_mul_f32_e32 v99, v56, v105
	;; [unrolled: 1-line block ×3, first 2 shown]
	v_fmac_f32_e32 v102, v38, v111
	v_fmac_f32_e32 v119, v9, v95
	v_fma_f32 v107, v81, v106, -v3
	v_mul_f32_e32 v3, v38, v112
	v_fma_f32 v115, v87, v97, -v98
	v_mul_f32_e32 v101, v78, v110
	v_mul_f32_e32 v9, v41, v110
	v_fmac_f32_e32 v108, v56, v104
	v_fma_f32 v110, v84, v104, -v99
	v_fmac_f32_e32 v105, v44, v106
	v_fma_f32 v104, v75, v111, -v3
	v_mul_f32_e32 v106, v72, v130
	v_mul_f32_e32 v38, v61, v134
	;; [unrolled: 1-line block ×5, first 2 shown]
	v_fmac_f32_e32 v113, v65, v97
	v_fma_f32 v100, v85, v133, -v38
	v_mul_f32_e32 v95, v88, v136
	v_fmac_f32_e32 v101, v41, v109
	v_fma_f32 v103, v78, v109, -v9
	v_mul_f32_e32 v111, v52, v132
	v_mul_f32_e32 v9, v20, v132
	;; [unrolled: 1-line block ×4, first 2 shown]
	v_fma_f32 v97, v88, v135, -v3
	v_mul_f32_e32 v3, v62, v138
	v_mul_f32_e32 v75, v83, v140
	v_fmac_f32_e32 v98, v61, v133
	v_mul_f32_e32 v61, v45, v144
	v_fma_f32 v78, v83, v139, -v38
	v_mul_f32_e32 v83, v73, v150
	v_mul_f32_e32 v41, v71, v156
	v_fmac_f32_e32 v106, v31, v129
	v_fma_f32 v109, v72, v129, -v56
	v_mul_f32_e32 v129, v30, v156
	v_mul_f32_e32 v133, v12, v160
	v_fmac_f32_e32 v95, v66, v135
	v_mul_f32_e32 v87, v82, v144
	v_mul_f32_e32 v88, v79, v142
	v_fmac_f32_e32 v81, v62, v137
	v_mul_f32_e32 v62, v42, v142
	v_mul_f32_e32 v66, v80, v146
	v_fma_f32 v84, v86, v137, -v3
	v_mul_f32_e32 v65, v43, v146
	v_mul_f32_e32 v44, v77, v148
	;; [unrolled: 1-line block ×4, first 2 shown]
	v_fmac_f32_e32 v111, v20, v131
	v_fma_f32 v112, v52, v131, -v9
	v_mul_f32_e32 v131, v15, v158
	v_mul_f32_e32 v124, v46, v160
	v_fma_f32 v86, v82, v143, -v61
	v_mul_f32_e32 v82, v57, v162
	v_mul_f32_e32 v136, v14, v168
	;; [unrolled: 1-line block ×3, first 2 shown]
	v_fmac_f32_e32 v83, v36, v149
	v_fmac_f32_e32 v41, v30, v155
	v_fma_f32 v30, v71, v155, -v129
	v_fma_f32 v71, v46, v159, -v133
	v_fmac_f32_e32 v75, v55, v139
	v_mul_f32_e32 v55, v40, v148
	v_mul_f32_e32 v85, v76, v152
	;; [unrolled: 1-line block ×4, first 2 shown]
	v_fmac_f32_e32 v87, v45, v143
	v_mul_f32_e32 v96, v53, v164
	v_mul_f32_e32 v61, v21, v164
	v_fmac_f32_e32 v88, v42, v141
	v_fma_f32 v79, v79, v141, -v62
	v_mul_f32_e32 v134, v26, v162
	v_mul_f32_e32 v135, v27, v166
	;; [unrolled: 1-line block ×3, first 2 shown]
	v_fmac_f32_e32 v66, v43, v145
	v_fma_f32 v43, v80, v145, -v65
	v_mul_f32_e32 v65, v16, v170
	v_mul_f32_e32 v80, v47, v172
	;; [unrolled: 1-line block ×3, first 2 shown]
	v_fmac_f32_e32 v44, v40, v147
	v_mul_f32_e32 v52, v67, v180
	v_mul_f32_e32 v141, v28, v180
	v_fma_f32 v40, v74, v153, -v132
	v_mul_f32_e32 v132, v25, v190
	v_fma_f32 v74, v49, v157, -v131
	v_fmac_f32_e32 v124, v12, v159
	v_fmac_f32_e32 v82, v26, v161
	v_fma_f32 v26, v48, v167, -v136
	v_fma_f32 v48, v47, v171, -v137
	v_fmac_f32_e32 v36, v25, v189
	v_sub_f32_e32 v25, v121, v71
	v_mul_f32_e32 v38, v39, v152
	v_mul_f32_e32 v20, v58, v166
	;; [unrolled: 1-line block ×4, first 2 shown]
	v_fma_f32 v42, v77, v147, -v55
	v_mul_f32_e32 v138, v17, v174
	v_mul_f32_e32 v139, v125, v176
	;; [unrolled: 1-line block ×4, first 2 shown]
	v_fmac_f32_e32 v85, v39, v151
	v_mul_f32_e32 v39, v68, v182
	v_mul_f32_e32 v142, v29, v182
	;; [unrolled: 1-line block ×5, first 2 shown]
	v_fmac_f32_e32 v123, v15, v157
	v_fmac_f32_e32 v96, v21, v163
	v_fma_f32 v49, v53, v163, -v61
	v_fma_f32 v46, v57, v161, -v134
	;; [unrolled: 1-line block ×3, first 2 shown]
	v_fmac_f32_e32 v80, v13, v171
	v_fma_f32 v47, v50, v169, -v65
	v_fmac_f32_e32 v52, v28, v179
	v_fma_f32 v61, v67, v179, -v141
	v_add_f32_e32 v28, v119, v124
	v_sub_f32_e32 v50, v115, v74
	v_sub_f32_e32 v67, v100, v48
	v_mul_f32_e32 v134, 0xbf0a6770, v25
	v_mul_f32_e32 v135, 0xbf68dda4, v25
	;; [unrolled: 1-line block ×6, first 2 shown]
	v_fmac_f32_e32 v3, v37, v153
	v_mul_f32_e32 v37, v59, v192
	v_mul_f32_e32 v56, v60, v194
	;; [unrolled: 1-line block ×3, first 2 shown]
	v_fmac_f32_e32 v20, v27, v165
	v_fmac_f32_e32 v99, v16, v169
	;; [unrolled: 1-line block ×3, first 2 shown]
	v_fma_f32 v17, v51, v173, -v138
	v_fma_f32 v27, v127, v175, -v139
	v_fmac_f32_e32 v55, v5, v177
	v_fma_f32 v65, v1, v177, -v140
	v_fmac_f32_e32 v39, v29, v181
	v_fma_f32 v16, v68, v181, -v142
	v_fma_f32 v12, v64, v185, -v143
	;; [unrolled: 1-line block ×4, first 2 shown]
	v_sub_f32_e32 v5, v110, v112
	v_add_f32_e32 v29, v113, v123
	v_add_f32_e32 v64, v98, v80
	v_mul_f32_e32 v138, 0xbf68dda4, v50
	v_mul_f32_e32 v139, 0xbf4178ce, v50
	;; [unrolled: 1-line block ×10, first 2 shown]
	v_fmamk_f32 v162, v28, 0x3f575c64, v134
	v_fma_f32 v134, 0x3f575c64, v28, -v134
	v_fmamk_f32 v163, v28, 0x3ed4b147, v135
	v_fma_f32 v135, 0x3ed4b147, v28, -v135
	;; [unrolled: 2-line block ×5, first 2 shown]
	v_mul_f32_e32 v77, v127, v176
	v_fma_f32 v76, v76, v151, -v38
	v_mul_f32_e32 v38, v63, v184
	v_fma_f32 v73, v73, v149, -v130
	v_mul_f32_e32 v130, v22, v184
	v_mul_f32_e32 v62, v128, v196
	;; [unrolled: 1-line block ×3, first 2 shown]
	v_fmac_f32_e32 v45, v14, v167
	v_fmac_f32_e32 v37, v18, v191
	;; [unrolled: 1-line block ×3, first 2 shown]
	v_fma_f32 v58, v60, v193, -v129
	v_add_f32_e32 v1, v10, v119
	v_add_f32_e32 v18, v108, v111
	v_sub_f32_e32 v19, v107, v109
	v_mul_f32_e32 v51, 0xbf7d64f0, v5
	v_mul_f32_e32 v59, 0x3e903f40, v5
	;; [unrolled: 1-line block ×5, first 2 shown]
	v_fmamk_f32 v28, v29, 0x3ed4b147, v138
	v_fma_f32 v138, 0x3ed4b147, v29, -v138
	v_fmamk_f32 v167, v29, 0xbf27a4f4, v139
	v_fma_f32 v139, 0xbf27a4f4, v29, -v139
	;; [unrolled: 2-line block ×10, first 2 shown]
	v_add_f32_e32 v162, v10, v162
	v_add_f32_e32 v134, v10, v134
	;; [unrolled: 1-line block ×10, first 2 shown]
	v_mul_f32_e32 v31, v69, v188
	v_fmac_f32_e32 v77, v125, v175
	v_fmac_f32_e32 v38, v22, v183
	v_fma_f32 v14, v63, v183, -v130
	v_fmac_f32_e32 v9, v23, v185
	v_fma_f32 v15, v70, v189, -v132
	;; [unrolled: 2-line block ×3, first 2 shown]
	v_add_f32_e32 v22, v105, v106
	v_sub_f32_e32 v23, v103, v104
	v_add_f32_e32 v63, v11, v98
	v_mul_f32_e32 v69, 0xbf4178ce, v19
	v_mul_f32_e32 v70, 0x3f7d64f0, v19
	;; [unrolled: 1-line block ×5, first 2 shown]
	v_fmamk_f32 v146, v18, 0xbe11bafb, v51
	v_fma_f32 v51, 0xbe11bafb, v18, -v51
	v_fmamk_f32 v147, v18, 0xbf75a155, v59
	v_fma_f32 v59, 0xbf75a155, v18, -v59
	;; [unrolled: 2-line block ×5, first 2 shown]
	v_add_f32_e32 v25, v11, v50
	v_add_f32_e32 v50, v11, v142
	;; [unrolled: 1-line block ×20, first 2 shown]
	v_fmac_f32_e32 v31, v24, v187
	v_add_f32_e32 v24, v101, v102
	v_mul_f32_e32 v127, 0xbe903f40, v23
	v_mul_f32_e32 v128, 0x3f0a6770, v23
	;; [unrolled: 1-line block ×5, first 2 shown]
	v_sub_f32_e32 v131, v97, v47
	v_fmamk_f32 v18, v22, 0xbf27a4f4, v69
	v_fma_f32 v69, 0xbf27a4f4, v22, -v69
	v_fmamk_f32 v151, v22, 0xbe11bafb, v70
	v_fma_f32 v70, 0xbe11bafb, v22, -v70
	;; [unrolled: 2-line block ×5, first 2 shown]
	v_add_f32_e32 v28, v146, v28
	v_add_f32_e32 v51, v51, v64
	;; [unrolled: 1-line block ×11, first 2 shown]
	v_sub_f32_e32 v133, v79, v49
	v_fmamk_f32 v22, v24, 0xbf75a155, v127
	v_fma_f32 v127, 0xbf75a155, v24, -v127
	v_fmamk_f32 v155, v24, 0x3f575c64, v128
	v_fma_f32 v128, 0x3f575c64, v24, -v128
	v_fmamk_f32 v156, v24, 0xbf27a4f4, v129
	v_fma_f32 v129, 0xbf27a4f4, v24, -v129
	v_fmamk_f32 v157, v24, 0x3ed4b147, v130
	v_fma_f32 v130, 0x3ed4b147, v24, -v130
	v_fmamk_f32 v158, v24, 0xbe11bafb, v23
	v_fma_f32 v23, 0xbe11bafb, v24, -v23
	v_mul_f32_e32 v24, 0xbf68dda4, v131
	v_mul_f32_e32 v159, 0xbf4178ce, v131
	;; [unrolled: 1-line block ×5, first 2 shown]
	v_add_f32_e32 v10, v18, v28
	v_add_f32_e32 v18, v69, v51
	v_add_f32_e32 v28, v151, v64
	v_add_f32_e32 v51, v70, v59
	v_add_f32_e32 v59, v152, v134
	v_add_f32_e32 v60, v125, v60
	v_add_f32_e32 v64, v153, v135
	v_add_f32_e32 v68, v126, v68
	v_add_f32_e32 v69, v154, v136
	v_add_f32_e32 v5, v19, v5
	v_fmamk_f32 v67, v132, 0x3ed4b147, v24
	v_fma_f32 v24, 0x3ed4b147, v132, -v24
	v_add_f32_e32 v19, v22, v10
	v_add_f32_e32 v22, v155, v28
	;; [unrolled: 1-line block ×10, first 2 shown]
	v_mul_f32_e32 v10, 0xbf7d64f0, v133
	v_fma_f32 v69, 0x3f575c64, v132, -v131
	v_fmamk_f32 v175, v132, 0xbf27a4f4, v159
	v_fma_f32 v159, 0xbf27a4f4, v132, -v159
	v_fmamk_f32 v176, v132, 0xbf75a155, v160
	v_add_f32_e32 v24, v24, v50
	v_add_f32_e32 v18, v127, v18
	v_mul_f32_e32 v126, 0x3e903f40, v133
	v_fmamk_f32 v127, v5, 0xbe11bafb, v10
	v_add_f32_e32 v11, v69, v11
	v_fma_f32 v10, 0xbe11bafb, v5, -v10
	v_mul_f32_e32 v69, 0x3f68dda4, v133
	v_add_f32_e32 v25, v67, v25
	v_add_f32_e32 v50, v159, v143
	;; [unrolled: 1-line block ×3, first 2 shown]
	v_fmamk_f32 v128, v5, 0xbf75a155, v126
	v_fma_f32 v126, 0xbf75a155, v5, -v126
	v_add_f32_e32 v10, v10, v24
	v_fmamk_f32 v24, v5, 0x3ed4b147, v69
	v_fmamk_f32 v177, v132, 0xbe11bafb, v161
	v_fma_f32 v161, 0xbe11bafb, v132, -v161
	v_fmamk_f32 v178, v132, 0x3f575c64, v131
	v_add_f32_e32 v29, v175, v142
	v_add_f32_e32 v25, v127, v25
	;; [unrolled: 1-line block ×3, first 2 shown]
	v_mul_f32_e32 v126, 0xbf0a6770, v133
	v_add_f32_e32 v24, v24, v67
	v_mul_f32_e32 v67, 0xbf4178ce, v133
	v_sub_f32_e32 v127, v86, v46
	v_add_f32_e32 v70, v161, v145
	v_add_f32_e32 v125, v178, v173
	;; [unrolled: 1-line block ×3, first 2 shown]
	v_fmamk_f32 v128, v5, 0x3f575c64, v126
	v_fma_f32 v126, 0x3f575c64, v5, -v126
	v_fmamk_f32 v129, v5, 0xbf27a4f4, v67
	v_add_f32_e32 v130, v87, v82
	v_mul_f32_e32 v131, 0xbf4178ce, v127
	v_fma_f32 v160, 0xbf75a155, v132, -v160
	v_fma_f32 v69, 0x3ed4b147, v5, -v69
	;; [unrolled: 1-line block ×3, first 2 shown]
	v_add_f32_e32 v67, v126, v70
	v_add_f32_e32 v70, v129, v125
	v_fmamk_f32 v125, v130, 0xbf27a4f4, v131
	v_mul_f32_e32 v126, 0x3f7d64f0, v127
	v_add_f32_e32 v141, v160, v144
	v_add_f32_e32 v5, v5, v11
	v_fma_f32 v11, 0xbf27a4f4, v130, -v131
	v_mul_f32_e32 v129, 0xbf0a6770, v127
	v_add_f32_e32 v25, v125, v25
	v_fmamk_f32 v125, v130, 0xbe11bafb, v126
	v_add_f32_e32 v69, v69, v141
	v_fma_f32 v126, 0xbe11bafb, v130, -v126
	v_add_f32_e32 v10, v11, v10
	v_fmamk_f32 v11, v130, 0x3f575c64, v129
	v_fma_f32 v129, 0x3f575c64, v130, -v129
	v_add_f32_e32 v29, v125, v29
	v_mul_f32_e32 v125, 0xbe903f40, v127
	v_add_f32_e32 v142, v177, v172
	v_add_f32_e32 v50, v126, v50
	;; [unrolled: 1-line block ×4, first 2 shown]
	v_sub_f32_e32 v69, v73, v76
	v_mul_f32_e32 v126, 0x3f68dda4, v127
	v_fmamk_f32 v127, v130, 0xbf75a155, v125
	v_fma_f32 v125, 0xbf75a155, v130, -v125
	v_add_f32_e32 v128, v128, v142
	v_add_f32_e32 v129, v83, v85
	v_mul_f32_e32 v131, 0xbe903f40, v69
	v_fmamk_f32 v132, v130, 0x3ed4b147, v126
	v_add_f32_e32 v67, v125, v67
	v_fma_f32 v125, 0x3ed4b147, v130, -v126
	v_add_f32_e32 v127, v127, v128
	v_fmamk_f32 v126, v129, 0xbf75a155, v131
	v_mul_f32_e32 v128, 0x3f0a6770, v69
	v_fma_f32 v130, 0xbf75a155, v129, -v131
	v_add_f32_e32 v5, v125, v5
	v_mul_f32_e32 v125, 0xbf4178ce, v69
	v_add_f32_e32 v25, v126, v25
	v_fmamk_f32 v126, v129, 0x3f575c64, v128
	v_add_f32_e32 v130, v130, v10
	v_fma_f32 v10, 0x3f575c64, v129, -v128
	v_mul_f32_e32 v128, 0x3f68dda4, v69
	v_fmamk_f32 v131, v129, 0xbf27a4f4, v125
	v_add_f32_e32 v1, v1, v113
	v_add_f32_e32 v29, v126, v29
	v_fma_f32 v125, 0xbf27a4f4, v129, -v125
	v_add_f32_e32 v50, v10, v50
	v_fmamk_f32 v10, v129, 0x3ed4b147, v128
	v_add_f32_e32 v126, v131, v11
	v_mul_f32_e32 v11, 0xbf7d64f0, v69
	v_add_f32_e32 v1, v1, v108
	v_add_f32_e32 v24, v125, v24
	v_sub_f32_e32 v69, v84, v27
	v_add_f32_e32 v125, v10, v127
	v_fma_f32 v10, 0x3ed4b147, v129, -v128
	v_fmamk_f32 v127, v129, 0xbe11bafb, v11
	v_fma_f32 v11, 0xbe11bafb, v129, -v11
	v_add_f32_e32 v1, v1, v105
	v_add_f32_e32 v70, v132, v70
	;; [unrolled: 1-line block ×3, first 2 shown]
	v_mul_f32_e32 v131, 0xbf0a6770, v69
	v_add_f32_e32 v67, v10, v67
	v_mul_f32_e32 v10, 0xbf68dda4, v69
	v_add_f32_e32 v129, v11, v5
	v_mul_f32_e32 v11, 0xbf7d64f0, v69
	v_mul_f32_e32 v133, 0xbf4178ce, v69
	;; [unrolled: 1-line block ×3, first 2 shown]
	v_sub_f32_e32 v134, v78, v17
	v_add_f32_e32 v63, v63, v95
	v_add_f32_e32 v1, v1, v101
	;; [unrolled: 1-line block ×3, first 2 shown]
	v_fmamk_f32 v127, v128, 0x3f575c64, v131
	v_fma_f32 v5, 0x3f575c64, v128, -v131
	v_fmamk_f32 v135, v128, 0xbf27a4f4, v133
	v_fma_f32 v133, 0xbf27a4f4, v128, -v133
	v_fmamk_f32 v136, v128, 0xbf75a155, v69
	v_add_f32_e32 v137, v75, v72
	v_mul_f32_e32 v138, 0xbf68dda4, v134
	v_add_f32_e32 v63, v63, v88
	v_add_f32_e32 v1, v1, v102
	v_fmamk_f32 v131, v128, 0x3ed4b147, v10
	v_add_f32_e32 v127, v8, v127
	v_fma_f32 v10, 0x3ed4b147, v128, -v10
	v_add_f32_e32 v5, v8, v5
	v_fmamk_f32 v132, v128, 0xbe11bafb, v11
	v_fma_f32 v11, 0xbe11bafb, v128, -v11
	v_fma_f32 v69, 0xbf75a155, v128, -v69
	v_add_f32_e32 v128, v8, v133
	v_add_f32_e32 v133, v8, v136
	v_fmamk_f32 v136, v137, 0x3ed4b147, v138
	v_mul_f32_e32 v139, 0xbf4178ce, v134
	v_fma_f32 v138, 0x3ed4b147, v137, -v138
	v_add_f32_e32 v63, v63, v87
	v_add_f32_e32 v1, v1, v106
	;; [unrolled: 1-line block ×5, first 2 shown]
	v_fmamk_f32 v136, v137, 0xbf27a4f4, v139
	v_mul_f32_e32 v140, 0x3e903f40, v134
	v_add_f32_e32 v5, v138, v5
	v_fma_f32 v138, 0xbf27a4f4, v137, -v139
	v_add_f32_e32 v1, v1, v111
	v_add_f32_e32 v132, v8, v132
	;; [unrolled: 1-line block ×5, first 2 shown]
	v_fmamk_f32 v136, v137, 0xbf75a155, v140
	v_mul_f32_e32 v139, 0x3f7d64f0, v134
	v_add_f32_e32 v10, v138, v10
	v_fma_f32 v138, 0xbf75a155, v137, -v140
	v_add_f32_e32 v1, v1, v123
	v_add_f32_e32 v135, v8, v135
	;; [unrolled: 1-line block ×4, first 2 shown]
	v_fmamk_f32 v136, v137, 0xbe11bafb, v139
	v_fma_f32 v139, 0xbe11bafb, v137, -v139
	v_mul_f32_e32 v134, 0x3f0a6770, v134
	v_add_f32_e32 v11, v138, v11
	v_sub_f32_e32 v138, v43, v26
	v_add_f32_e32 v69, v8, v69
	v_add_f32_e32 v135, v136, v135
	;; [unrolled: 1-line block ×3, first 2 shown]
	v_fmamk_f32 v136, v137, 0x3f575c64, v134
	v_add_f32_e32 v139, v66, v45
	v_mul_f32_e32 v140, 0xbf7d64f0, v138
	v_add_f32_e32 v141, v1, v124
	v_add_f32_e32 v1, v63, v82
	v_fma_f32 v63, 0x3f575c64, v137, -v134
	v_add_f32_e32 v133, v136, v133
	v_fmamk_f32 v134, v139, 0xbe11bafb, v140
	v_mul_f32_e32 v136, 0x3e903f40, v138
	v_mul_f32_e32 v137, 0x3f68dda4, v138
	v_add_f32_e32 v63, v63, v69
	v_fma_f32 v69, 0xbe11bafb, v139, -v140
	v_add_f32_e32 v127, v134, v127
	v_fmamk_f32 v134, v139, 0xbf75a155, v136
	v_add_f32_e32 v8, v8, v81
	v_add_f32_e32 v1, v1, v96
	;; [unrolled: 1-line block ×3, first 2 shown]
	v_fma_f32 v69, 0xbf75a155, v139, -v136
	v_add_f32_e32 v131, v134, v131
	v_fmamk_f32 v134, v139, 0x3ed4b147, v137
	v_mul_f32_e32 v136, 0xbf0a6770, v138
	v_add_f32_e32 v8, v8, v75
	v_add_f32_e32 v10, v69, v10
	v_fma_f32 v69, 0x3ed4b147, v139, -v137
	v_add_f32_e32 v132, v134, v132
	v_fmamk_f32 v134, v139, 0x3f575c64, v136
	v_fma_f32 v136, 0x3f575c64, v139, -v136
	v_mul_f32_e32 v137, 0xbf4178ce, v138
	v_add_f32_e32 v11, v69, v11
	v_sub_f32_e32 v69, v42, v21
	v_add_f32_e32 v134, v134, v135
	v_add_f32_e32 v128, v136, v128
	v_fmamk_f32 v135, v139, 0xbf27a4f4, v137
	v_add_f32_e32 v136, v44, v20
	v_mul_f32_e32 v138, 0xbf4178ce, v69
	v_fma_f32 v137, 0xbf27a4f4, v139, -v137
	v_add_f32_e32 v8, v8, v66
	v_add_f32_e32 v133, v135, v133
	v_mul_f32_e32 v139, 0x3f7d64f0, v69
	v_fmamk_f32 v135, v136, 0xbf27a4f4, v138
	v_add_f32_e32 v63, v137, v63
	v_fma_f32 v137, 0xbf27a4f4, v136, -v138
	v_add_f32_e32 v8, v8, v44
	v_mul_f32_e32 v138, 0xbf0a6770, v69
	v_add_f32_e32 v127, v135, v127
	v_fmamk_f32 v135, v136, 0xbe11bafb, v139
	v_add_f32_e32 v5, v137, v5
	v_fma_f32 v137, 0xbe11bafb, v136, -v139
	v_add_f32_e32 v8, v8, v3
	v_mul_f32_e32 v139, 0xbe903f40, v69
	v_add_f32_e32 v131, v135, v131
	v_fmamk_f32 v135, v136, 0x3f575c64, v138
	v_add_f32_e32 v10, v137, v10
	v_fma_f32 v137, 0x3f575c64, v136, -v138
	v_add_f32_e32 v8, v8, v41
	v_fma_f32 v138, 0xbf75a155, v136, -v139
	v_add_f32_e32 v132, v135, v132
	v_fmamk_f32 v135, v136, 0xbf75a155, v139
	v_mul_f32_e32 v69, 0x3f68dda4, v69
	v_add_f32_e32 v11, v137, v11
	v_sub_f32_e32 v137, v40, v30
	v_add_f32_e32 v1, v1, v99
	v_add_f32_e32 v8, v8, v20
	;; [unrolled: 1-line block ×4, first 2 shown]
	v_fmamk_f32 v135, v136, 0x3ed4b147, v69
	v_add_f32_e32 v138, v3, v41
	v_mul_f32_e32 v139, 0xbe903f40, v137
	v_add_f32_e32 v140, v1, v80
	v_add_f32_e32 v1, v8, v45
	;; [unrolled: 1-line block ×3, first 2 shown]
	v_fma_f32 v69, 0x3ed4b147, v136, -v69
	v_mul_f32_e32 v135, 0x3f0a6770, v137
	v_fma_f32 v136, 0xbf75a155, v138, -v139
	v_fmamk_f32 v133, v138, 0xbf75a155, v139
	v_add_f32_e32 v1, v1, v72
	v_add_f32_e32 v63, v69, v63
	v_fmamk_f32 v69, v138, 0x3f575c64, v135
	v_add_f32_e32 v136, v136, v5
	v_fma_f32 v5, 0x3f575c64, v138, -v135
	v_mul_f32_e32 v135, 0x3f68dda4, v137
	v_add_f32_e32 v127, v133, v127
	v_mul_f32_e32 v133, 0xbf4178ce, v137
	v_add_f32_e32 v131, v69, v131
	v_add_f32_e32 v139, v5, v10
	v_fmamk_f32 v5, v138, 0x3ed4b147, v135
	v_add_f32_e32 v142, v1, v77
	v_fmamk_f32 v69, v138, 0xbf27a4f4, v133
	v_mul_f32_e32 v10, 0xbf7d64f0, v137
	v_mov_b32_e32 v1, 0x134
	v_add_f32_e32 v134, v5, v134
	v_mov_b32_e32 v5, 2
	v_fma_f32 v133, 0xbf27a4f4, v138, -v133
	v_add_f32_e32 v132, v69, v132
	v_fmamk_f32 v69, v138, 0xbe11bafb, v10
	v_fma_f32 v10, 0xbe11bafb, v138, -v10
	v_mul_u32_u24_sdwa v114, v114, v1 dst_sel:DWORD dst_unused:UNUSED_PAD src0_sel:WORD_0 src1_sel:DWORD
	v_lshlrev_b32_sdwa v116, v5, v116 dst_sel:DWORD dst_unused:UNUSED_PAD src0_sel:DWORD src1_sel:BYTE_0
	v_add_f32_e32 v133, v133, v11
	v_fma_f32 v11, 0x3ed4b147, v138, -v135
	v_add_f32_e32 v63, v10, v63
	v_add_f32_e32 v8, v69, v8
	v_add3_u32 v10, 0, v114, v116
	v_lshlrev_b32_sdwa v69, v5, v122 dst_sel:DWORD dst_unused:UNUSED_PAD src0_sel:DWORD src1_sel:BYTE_0
	v_add_f32_e32 v128, v11, v128
	v_mul_u32_u24_sdwa v11, v117, v1 dst_sel:DWORD dst_unused:UNUSED_PAD src0_sel:WORD_0 src1_sel:DWORD
	ds_write2_b32 v10, v141, v19 offset1:7
	ds_write2_b32 v10, v22, v51 offset0:14 offset1:21
	ds_write2_b32 v10, v60, v68 offset0:28 offset1:35
	;; [unrolled: 1-line block ×3, first 2 shown]
	v_mul_u32_u24_sdwa v19, v118, v1 dst_sel:DWORD dst_unused:UNUSED_PAD src0_sel:WORD_0 src1_sel:DWORD
	v_lshlrev_b32_sdwa v22, v5, v120 dst_sel:DWORD dst_unused:UNUSED_PAD src0_sel:DWORD src1_sel:BYTE_0
	v_add3_u32 v11, 0, v11, v69
	ds_write2_b32 v10, v59, v28 offset0:56 offset1:63
	ds_write_b32 v10, v18 offset:280
	ds_write2_b32 v11, v140, v25 offset1:7
	ds_write2_b32 v11, v29, v126 offset0:14 offset1:21
	v_add3_u32 v69, 0, v19, v22
	ds_write2_b32 v11, v125, v70 offset0:28 offset1:35
	ds_write2_b32 v11, v129, v67 offset0:42 offset1:49
	;; [unrolled: 1-line block ×3, first 2 shown]
	ds_write_b32 v11, v130 offset:280
	ds_write2_b32 v69, v142, v127 offset1:7
	ds_write2_b32 v69, v131, v132 offset0:14 offset1:21
	ds_write2_b32 v69, v134, v8 offset0:28 offset1:35
	;; [unrolled: 1-line block ×4, first 2 shown]
	ds_write_b32 v69, v136 offset:280
	s_and_saveexec_b32 s1, s0
	s_cbranch_execz .LBB0_17
; %bb.16:
	v_sub_f32_e32 v8, v65, v57
	v_add_f32_e32 v18, v55, v62
	v_sub_f32_e32 v22, v61, v58
	v_add_f32_e32 v19, v52, v56
	v_sub_f32_e32 v25, v16, v53
	v_mul_f32_e32 v24, 0xbe903f40, v8
	v_add_f32_e32 v23, v39, v37
	v_mul_f32_e32 v50, 0x3f0a6770, v22
	v_sub_f32_e32 v29, v14, v15
	v_mul_f32_e32 v63, 0xbf4178ce, v25
	v_fma_f32 v51, 0xbf75a155, v18, -v24
	v_add_f32_e32 v28, v38, v36
	v_fma_f32 v64, 0x3f575c64, v19, -v50
	v_sub_f32_e32 v60, v12, v13
	v_mul_f32_e32 v67, 0x3f68dda4, v29
	v_add_f32_e32 v51, v4, v51
	v_mul_f32_e32 v70, 0xbf4178ce, v8
	v_fma_f32 v114, 0xbf27a4f4, v23, -v63
	v_fmac_f32_e32 v24, 0xbf75a155, v18
	v_add_f32_e32 v59, v9, v31
	v_add_f32_e32 v51, v64, v51
	v_mul_f32_e32 v68, 0xbf7d64f0, v60
	v_mul_f32_e32 v64, 0x3f7d64f0, v22
	v_fma_f32 v116, 0x3ed4b147, v28, -v67
	v_fmac_f32_e32 v50, 0x3f575c64, v19
	v_add_f32_e32 v51, v114, v51
	v_add_f32_e32 v24, v4, v24
	v_fma_f32 v117, 0xbf27a4f4, v18, -v70
	v_fma_f32 v114, 0xbe11bafb, v59, -v68
	v_fmac_f32_e32 v63, 0xbf27a4f4, v23
	v_add_f32_e32 v51, v116, v51
	v_add_f32_e32 v24, v50, v24
	v_mul_f32_e32 v50, 0xbf0a6770, v25
	v_fma_f32 v116, 0xbe11bafb, v19, -v64
	v_add_f32_e32 v117, v4, v117
	v_add_f32_e32 v51, v114, v51
	;; [unrolled: 1-line block ×3, first 2 shown]
	v_fmac_f32_e32 v67, 0x3ed4b147, v28
	v_fmac_f32_e32 v70, 0xbf27a4f4, v18
	v_add_f32_e32 v63, v116, v117
	v_fma_f32 v114, 0x3f575c64, v23, -v50
	v_mul_f32_e32 v116, 0xbe903f40, v29
	v_add_f32_e32 v24, v67, v24
	v_add_f32_e32 v67, v4, v70
	v_fmac_f32_e32 v64, 0xbe11bafb, v19
	v_add_f32_e32 v63, v114, v63
	v_fma_f32 v70, 0xbf75a155, v28, -v116
	v_mul_f32_e32 v114, 0x3f68dda4, v60
	v_fmac_f32_e32 v68, 0xbe11bafb, v59
	v_add_f32_e32 v64, v64, v67
	v_fmac_f32_e32 v50, 0x3f575c64, v23
	v_add_f32_e32 v63, v70, v63
	v_fma_f32 v67, 0x3ed4b147, v59, -v114
	v_add_f32_e32 v24, v68, v24
	v_mul_f32_e32 v68, 0xbf7d64f0, v8
	v_add_f32_e32 v50, v50, v64
	v_fmac_f32_e32 v116, 0xbf75a155, v28
	v_add_f32_e32 v63, v67, v63
	v_mul_f32_e32 v64, 0x3e903f40, v22
	v_fma_f32 v67, 0xbe11bafb, v18, -v68
	v_fmac_f32_e32 v68, 0xbe11bafb, v18
	v_add_f32_e32 v50, v116, v50
	v_fmac_f32_e32 v114, 0x3ed4b147, v59
	v_fma_f32 v70, 0xbf75a155, v19, -v64
	v_mul_f32_e32 v116, 0x3f68dda4, v25
	v_add_f32_e32 v68, v4, v68
	v_fmac_f32_e32 v64, 0xbf75a155, v19
	v_add_f32_e32 v50, v114, v50
	v_add_f32_e32 v67, v4, v67
	v_mul_f32_e32 v114, 0xbf0a6770, v29
	v_fma_f32 v117, 0x3ed4b147, v23, -v116
	v_add_f32_e32 v64, v64, v68
	v_fmac_f32_e32 v116, 0x3ed4b147, v23
	v_add_f32_e32 v67, v70, v67
	v_fma_f32 v68, 0x3f575c64, v28, -v114
	v_mul_f32_e32 v70, 0xbf68dda4, v8
	v_mul_f32_e32 v118, 0xbf4178ce, v60
	v_add_f32_e32 v64, v116, v64
	v_fmac_f32_e32 v114, 0x3f575c64, v28
	v_add_f32_e32 v67, v117, v67
	v_fma_f32 v116, 0x3ed4b147, v18, -v70
	v_mul_f32_e32 v117, 0xbf4178ce, v22
	v_fma_f32 v120, 0xbf27a4f4, v59, -v118
	v_add_f32_e32 v64, v114, v64
	v_fmac_f32_e32 v118, 0xbf27a4f4, v59
	v_fmac_f32_e32 v70, 0x3ed4b147, v18
	v_add_f32_e32 v114, v4, v116
	v_fma_f32 v116, 0xbf27a4f4, v19, -v117
	v_fmac_f32_e32 v117, 0xbf27a4f4, v19
	v_add_f32_e32 v64, v118, v64
	v_add_f32_e32 v70, v4, v70
	;; [unrolled: 1-line block ×3, first 2 shown]
	v_mul_f32_e32 v8, 0xbf0a6770, v8
	v_mul_f32_e32 v22, 0xbf68dda4, v22
	;; [unrolled: 1-line block ×3, first 2 shown]
	v_add_f32_e32 v70, v117, v70
	v_add_f32_e32 v117, v118, v52
	v_fma_f32 v118, 0x3f575c64, v18, -v8
	v_fmac_f32_e32 v8, 0x3f575c64, v18
	v_mul_f32_e32 v25, 0xbf7d64f0, v25
	v_add_f32_e32 v67, v68, v67
	v_add_f32_e32 v117, v117, v39
	;; [unrolled: 1-line block ×4, first 2 shown]
	v_mul_f32_e32 v116, 0x3f7d64f0, v29
	v_add_f32_e32 v4, v4, v118
	v_add_f32_e32 v18, v117, v38
	v_fma_f32 v117, 0x3ed4b147, v19, -v22
	v_fmac_f32_e32 v22, 0x3ed4b147, v19
	v_fma_f32 v19, 0xbe11bafb, v23, -v25
	v_mul_f32_e32 v29, 0xbf4178ce, v29
	v_add_f32_e32 v18, v18, v9
	v_fmac_f32_e32 v25, 0xbe11bafb, v23
	v_add_f32_e32 v8, v22, v8
	v_fma_f32 v114, 0xbf75a155, v23, -v122
	v_fmac_f32_e32 v122, 0xbf75a155, v23
	v_add_f32_e32 v18, v18, v31
	v_add_f32_e32 v4, v117, v4
	v_fma_f32 v22, 0xbf27a4f4, v28, -v29
	v_mul_f32_e32 v23, 0xbe903f40, v60
	v_add_f32_e32 v8, v25, v8
	v_add_f32_e32 v18, v18, v36
	v_fmac_f32_e32 v29, 0xbf27a4f4, v28
	v_add_f32_e32 v68, v114, v68
	v_fma_f32 v114, 0xbe11bafb, v28, -v116
	v_mul_f32_e32 v125, 0x3f0a6770, v60
	v_add_f32_e32 v18, v18, v37
	v_add_f32_e32 v70, v122, v70
	v_fmac_f32_e32 v116, 0xbe11bafb, v28
	v_add_f32_e32 v4, v19, v4
	v_fma_f32 v19, 0xbf75a155, v59, -v23
	v_add_f32_e32 v8, v29, v8
	v_fmac_f32_e32 v23, 0xbf75a155, v59
	v_add_f32_e32 v18, v18, v56
	v_mul_u32_u24_sdwa v1, v93, v1 dst_sel:DWORD dst_unused:UNUSED_PAD src0_sel:WORD_0 src1_sel:DWORD
	v_lshlrev_b32_sdwa v5, v5, v94 dst_sel:DWORD dst_unused:UNUSED_PAD src0_sel:DWORD src1_sel:BYTE_0
	v_add_f32_e32 v68, v114, v68
	v_fma_f32 v114, 0x3f575c64, v59, -v125
	v_add_f32_e32 v25, v116, v70
	v_fmac_f32_e32 v125, 0x3f575c64, v59
	v_add_f32_e32 v4, v22, v4
	v_add_f32_e32 v8, v23, v8
	;; [unrolled: 1-line block ×3, first 2 shown]
	v_add3_u32 v1, 0, v1, v5
	v_add_f32_e32 v5, v125, v25
	v_add_f32_e32 v22, v120, v67
	;; [unrolled: 1-line block ×4, first 2 shown]
	ds_write2_b32 v1, v18, v8 offset1:7
	ds_write2_b32 v1, v5, v64 offset0:14 offset1:21
	ds_write2_b32 v1, v50, v24 offset0:28 offset1:35
	;; [unrolled: 1-line block ×4, first 2 shown]
	ds_write_b32 v1, v4 offset:280
.LBB0_17:
	s_or_b32 exec_lo, exec_lo, s1
	v_add_f32_e32 v1, v6, v121
	v_add_f32_e32 v4, v121, v71
	v_sub_f32_e32 v5, v119, v124
	v_add_f32_e32 v8, v115, v74
	v_sub_f32_e32 v18, v113, v123
	v_add_f32_e32 v1, v1, v115
	v_mul_f32_e32 v19, 0x3f575c64, v4
	v_mul_f32_e32 v22, 0x3ed4b147, v4
	;; [unrolled: 1-line block ×4, first 2 shown]
	v_add_f32_e32 v1, v1, v110
	v_mul_f32_e32 v4, 0xbf75a155, v4
	v_mul_f32_e32 v25, 0x3ed4b147, v8
	;; [unrolled: 1-line block ×3, first 2 shown]
	v_fmamk_f32 v50, v5, 0x3f0a6770, v19
	v_add_f32_e32 v1, v1, v107
	v_fmac_f32_e32 v19, 0xbf0a6770, v5
	v_fmamk_f32 v51, v5, 0x3f68dda4, v22
	v_fmac_f32_e32 v22, 0xbf68dda4, v5
	v_mul_f32_e32 v29, 0xbf75a155, v8
	v_add_f32_e32 v1, v1, v103
	v_fmamk_f32 v59, v5, 0x3f7d64f0, v23
	v_fmac_f32_e32 v23, 0xbf7d64f0, v5
	v_fmamk_f32 v60, v5, 0x3f4178ce, v24
	v_fmac_f32_e32 v24, 0xbf4178ce, v5
	v_add_f32_e32 v1, v1, v104
	v_fmamk_f32 v63, v5, 0x3e903f40, v4
	v_fmac_f32_e32 v4, 0xbe903f40, v5
	v_fmamk_f32 v5, v18, 0x3f68dda4, v25
	v_fmac_f32_e32 v25, 0xbf68dda4, v18
	v_add_f32_e32 v1, v1, v109
	v_fmamk_f32 v64, v18, 0x3f4178ce, v28
	v_add_f32_e32 v19, v6, v19
	v_add_f32_e32 v22, v6, v22
	v_fmac_f32_e32 v28, 0xbf4178ce, v18
	v_add_f32_e32 v1, v1, v112
	v_add_f32_e32 v50, v6, v50
	;; [unrolled: 1-line block ×12, first 2 shown]
	v_fmamk_f32 v6, v18, 0xbe903f40, v29
	v_fmac_f32_e32 v29, 0x3e903f40, v18
	v_add_f32_e32 v22, v28, v22
	v_mul_f32_e32 v25, 0xbe11bafb, v8
	v_mul_f32_e32 v8, 0x3f575c64, v8
	v_add_f32_e32 v28, v110, v112
	v_add_f32_e32 v5, v5, v50
	;; [unrolled: 1-line block ×5, first 2 shown]
	v_fmamk_f32 v29, v18, 0xbf7d64f0, v25
	v_fmac_f32_e32 v25, 0x3f7d64f0, v18
	v_fmamk_f32 v50, v18, 0xbf0a6770, v8
	v_sub_f32_e32 v51, v108, v111
	v_mul_f32_e32 v59, 0xbe11bafb, v28
	v_fmac_f32_e32 v8, 0x3f0a6770, v18
	v_add_f32_e32 v18, v25, v24
	v_add_f32_e32 v24, v50, v63
	v_mul_f32_e32 v50, 0xbf75a155, v28
	v_fmamk_f32 v25, v51, 0x3f7d64f0, v59
	v_add_f32_e32 v4, v8, v4
	v_fmac_f32_e32 v59, 0xbf7d64f0, v51
	v_mul_f32_e32 v8, 0x3ed4b147, v28
	v_add_f32_e32 v29, v29, v60
	v_add_f32_e32 v5, v25, v5
	v_fmamk_f32 v25, v51, 0xbe903f40, v50
	v_add_f32_e32 v1, v59, v1
	v_fmamk_f32 v59, v51, 0xbf68dda4, v8
	v_fmac_f32_e32 v8, 0x3f68dda4, v51
	v_fmac_f32_e32 v50, 0x3e903f40, v51
	v_add_f32_e32 v19, v25, v19
	v_mul_f32_e32 v25, 0x3f575c64, v28
	v_add_f32_e32 v6, v59, v6
	v_add_f32_e32 v8, v8, v23
	;; [unrolled: 1-line block ×4, first 2 shown]
	v_mul_f32_e32 v28, 0xbf27a4f4, v28
	v_fmamk_f32 v50, v51, 0x3f0a6770, v25
	v_fmac_f32_e32 v25, 0xbf0a6770, v51
	v_sub_f32_e32 v59, v105, v106
	v_mul_f32_e32 v60, 0xbf27a4f4, v23
	v_fmamk_f32 v63, v51, 0x3f4178ce, v28
	v_add_f32_e32 v29, v50, v29
	v_add_f32_e32 v18, v25, v18
	v_fmac_f32_e32 v28, 0xbf4178ce, v51
	v_fmamk_f32 v25, v59, 0x3f4178ce, v60
	v_mul_f32_e32 v50, 0xbe11bafb, v23
	v_fmac_f32_e32 v60, 0xbf4178ce, v59
	v_mul_f32_e32 v51, 0xbf75a155, v23
	v_add_f32_e32 v4, v28, v4
	v_add_f32_e32 v5, v25, v5
	v_mul_f32_e32 v25, 0x3f575c64, v23
	v_fmamk_f32 v28, v59, 0xbf7d64f0, v50
	v_add_f32_e32 v1, v60, v1
	v_fmac_f32_e32 v50, 0x3f7d64f0, v59
	v_mul_f32_e32 v23, 0x3ed4b147, v23
	v_fmamk_f32 v60, v59, 0x3f0a6770, v25
	v_fmac_f32_e32 v25, 0xbf0a6770, v59
	v_add_f32_e32 v19, v28, v19
	v_fmamk_f32 v28, v59, 0x3e903f40, v51
	v_fmac_f32_e32 v51, 0xbe903f40, v59
	v_add_f32_e32 v6, v60, v6
	v_add_f32_e32 v8, v25, v8
	;; [unrolled: 1-line block ×7, first 2 shown]
	v_sub_f32_e32 v51, v101, v102
	v_fmamk_f32 v50, v59, 0xbf68dda4, v23
	v_mul_f32_e32 v60, 0xbf75a155, v28
	v_add_f32_e32 v29, v29, v97
	v_fmac_f32_e32 v23, 0x3f68dda4, v59
	v_add_f32_e32 v24, v63, v24
	v_sub_f32_e32 v20, v44, v20
	v_fmamk_f32 v59, v51, 0x3e903f40, v60
	v_add_f32_e32 v29, v29, v79
	v_fmac_f32_e32 v60, 0xbe903f40, v51
	v_add_f32_e32 v24, v50, v24
	v_mul_f32_e32 v50, 0x3f575c64, v28
	v_add_f32_e32 v102, v59, v5
	v_add_f32_e32 v5, v29, v86
	;; [unrolled: 1-line block ×4, first 2 shown]
	v_fmamk_f32 v23, v51, 0xbf0a6770, v50
	v_mul_f32_e32 v1, 0xbf27a4f4, v28
	v_add_f32_e32 v5, v5, v73
	v_fmac_f32_e32 v50, 0x3f0a6770, v51
	v_sub_f32_e32 v29, v95, v99
	v_add_f32_e32 v103, v23, v19
	v_mul_f32_e32 v19, 0x3ed4b147, v28
	v_add_f32_e32 v5, v5, v76
	v_fmamk_f32 v23, v51, 0x3f4178ce, v1
	v_fmac_f32_e32 v1, 0xbf4178ce, v51
	v_add_f32_e32 v104, v50, v22
	v_fmamk_f32 v22, v51, 0xbf68dda4, v19
	v_add_f32_e32 v5, v5, v46
	v_add_f32_e32 v106, v23, v6
	;; [unrolled: 1-line block ×3, first 2 shown]
	v_mul_f32_e32 v1, 0xbe11bafb, v28
	v_add_f32_e32 v6, v100, v48
	v_add_f32_e32 v5, v5, v49
	;; [unrolled: 1-line block ×3, first 2 shown]
	v_fmac_f32_e32 v19, 0x3f68dda4, v51
	v_fmamk_f32 v8, v51, 0x3f7d64f0, v1
	v_sub_f32_e32 v22, v98, v80
	v_mul_f32_e32 v23, 0x3f575c64, v6
	v_fmac_f32_e32 v1, 0xbf7d64f0, v51
	v_add_f32_e32 v5, v5, v47
	v_add_f32_e32 v80, v19, v18
	;; [unrolled: 1-line block ×3, first 2 shown]
	v_fmamk_f32 v8, v22, 0x3f0a6770, v23
	v_add_f32_e32 v100, v1, v4
	v_mul_f32_e32 v1, 0x3ed4b147, v6
	v_fmac_f32_e32 v23, 0xbf0a6770, v22
	v_add_f32_e32 v108, v5, v48
	v_mul_f32_e32 v5, 0xbe11bafb, v6
	v_mul_f32_e32 v19, 0xbf27a4f4, v6
	v_mul_f32_e32 v6, 0xbf75a155, v6
	v_add_f32_e32 v25, v97, v47
	v_add_f32_e32 v4, v7, v8
	v_fmamk_f32 v8, v22, 0x3f68dda4, v1
	v_add_f32_e32 v18, v7, v23
	v_fmac_f32_e32 v1, 0xbf68dda4, v22
	v_fmamk_f32 v23, v22, 0x3f7d64f0, v5
	v_fmac_f32_e32 v5, 0xbf7d64f0, v22
	v_fmamk_f32 v24, v22, 0x3f4178ce, v19
	;; [unrolled: 2-line block ×3, first 2 shown]
	v_mul_f32_e32 v47, 0x3ed4b147, v25
	v_fmac_f32_e32 v6, 0xbe903f40, v22
	v_add_f32_e32 v8, v7, v8
	v_add_f32_e32 v1, v7, v1
	;; [unrolled: 1-line block ×7, first 2 shown]
	v_mul_f32_e32 v28, 0xbf27a4f4, v25
	v_fmamk_f32 v48, v29, 0x3f68dda4, v47
	v_add_f32_e32 v6, v7, v6
	v_fmac_f32_e32 v47, 0xbf68dda4, v29
	v_mul_f32_e32 v7, 0xbf75a155, v25
	v_fmamk_f32 v50, v29, 0x3f4178ce, v28
	v_fmac_f32_e32 v28, 0xbf4178ce, v29
	v_add_f32_e32 v4, v48, v4
	v_add_f32_e32 v18, v47, v18
	v_fmamk_f32 v47, v29, 0xbe903f40, v7
	v_fmac_f32_e32 v7, 0x3e903f40, v29
	v_add_f32_e32 v1, v28, v1
	v_mul_f32_e32 v28, 0xbe11bafb, v25
	v_mul_f32_e32 v25, 0x3f575c64, v25
	v_add_f32_e32 v8, v50, v8
	v_add_f32_e32 v5, v7, v5
	v_add_f32_e32 v7, v79, v49
	v_add_f32_e32 v23, v47, v23
	v_fmamk_f32 v47, v29, 0xbf7d64f0, v28
	v_fmac_f32_e32 v28, 0x3f7d64f0, v29
	v_fmamk_f32 v48, v29, 0xbf0a6770, v25
	v_sub_f32_e32 v49, v88, v96
	v_mul_f32_e32 v50, 0xbe11bafb, v7
	v_fmac_f32_e32 v25, 0x3f0a6770, v29
	v_add_f32_e32 v19, v28, v19
	v_mul_f32_e32 v29, 0xbf75a155, v7
	v_add_f32_e32 v24, v47, v24
	v_fmamk_f32 v28, v49, 0x3f7d64f0, v50
	v_add_f32_e32 v6, v25, v6
	v_mul_f32_e32 v25, 0x3ed4b147, v7
	v_fmac_f32_e32 v50, 0xbf7d64f0, v49
	v_add_f32_e32 v22, v48, v22
	v_add_f32_e32 v4, v28, v4
	v_fmamk_f32 v28, v49, 0xbe903f40, v29
	v_fmamk_f32 v47, v49, 0xbf68dda4, v25
	v_fmac_f32_e32 v25, 0x3f68dda4, v49
	v_fmac_f32_e32 v29, 0x3e903f40, v49
	v_add_f32_e32 v18, v50, v18
	v_add_f32_e32 v8, v28, v8
	v_mul_f32_e32 v28, 0x3f575c64, v7
	v_add_f32_e32 v5, v25, v5
	v_add_f32_e32 v25, v86, v46
	;; [unrolled: 1-line block ×4, first 2 shown]
	v_mul_f32_e32 v7, 0xbf27a4f4, v7
	v_fmamk_f32 v29, v49, 0x3f0a6770, v28
	v_fmac_f32_e32 v28, 0xbf0a6770, v49
	v_sub_f32_e32 v46, v87, v82
	v_mul_f32_e32 v47, 0xbf27a4f4, v25
	v_fmamk_f32 v48, v49, 0x3f4178ce, v7
	v_add_f32_e32 v24, v29, v24
	v_add_f32_e32 v19, v28, v19
	v_fmac_f32_e32 v7, 0xbf4178ce, v49
	v_fmamk_f32 v28, v46, 0x3f4178ce, v47
	v_fmac_f32_e32 v47, 0xbf4178ce, v46
	v_mul_f32_e32 v29, 0xbe11bafb, v25
	v_add_f32_e32 v22, v48, v22
	v_add_f32_e32 v6, v7, v6
	;; [unrolled: 1-line block ×3, first 2 shown]
	v_mul_f32_e32 v7, 0x3f575c64, v25
	v_add_f32_e32 v18, v47, v18
	v_fmamk_f32 v28, v46, 0xbf7d64f0, v29
	v_mul_f32_e32 v47, 0xbf75a155, v25
	v_fmac_f32_e32 v29, 0x3f7d64f0, v46
	v_fmamk_f32 v48, v46, 0x3f0a6770, v7
	v_fmac_f32_e32 v7, 0xbf0a6770, v46
	v_add_f32_e32 v8, v28, v8
	v_fmamk_f32 v28, v46, 0x3e903f40, v47
	v_fmac_f32_e32 v47, 0xbe903f40, v46
	v_add_f32_e32 v1, v29, v1
	v_add_f32_e32 v5, v7, v5
	v_mul_f32_e32 v7, 0x3ed4b147, v25
	v_add_f32_e32 v24, v28, v24
	v_add_f32_e32 v25, v73, v76
	;; [unrolled: 1-line block ×4, first 2 shown]
	v_fmamk_f32 v29, v46, 0xbf68dda4, v7
	v_add_f32_e32 v19, v47, v19
	v_sub_f32_e32 v47, v83, v85
	v_mul_f32_e32 v48, 0xbf75a155, v25
	v_add_f32_e32 v28, v28, v78
	v_add_f32_e32 v22, v29, v22
	v_fmac_f32_e32 v7, 0x3f68dda4, v46
	v_mul_f32_e32 v29, 0x3f575c64, v25
	v_fmamk_f32 v46, v47, 0x3e903f40, v48
	v_add_f32_e32 v28, v28, v43
	v_fmac_f32_e32 v48, 0xbe903f40, v47
	v_add_f32_e32 v6, v7, v6
	v_fmamk_f32 v7, v47, 0xbf0a6770, v29
	v_add_f32_e32 v73, v46, v4
	v_add_f32_e32 v4, v28, v42
	;; [unrolled: 1-line block ×3, first 2 shown]
	v_mul_f32_e32 v18, 0xbf27a4f4, v25
	v_add_f32_e32 v79, v7, v8
	v_fmac_f32_e32 v29, 0x3f0a6770, v47
	v_add_f32_e32 v4, v4, v40
	v_mul_f32_e32 v7, 0x3ed4b147, v25
	v_fmamk_f32 v8, v47, 0x3f4178ce, v18
	v_fmac_f32_e32 v18, 0xbf4178ce, v47
	v_add_f32_e32 v82, v29, v1
	v_add_f32_e32 v1, v4, v30
	v_fmamk_f32 v4, v47, 0xbf68dda4, v7
	v_add_f32_e32 v83, v8, v23
	v_add_f32_e32 v85, v18, v5
	v_mul_f32_e32 v5, 0xbe11bafb, v25
	v_add_f32_e32 v1, v1, v21
	v_add_f32_e32 v86, v4, v24
	v_add_f32_e32 v4, v84, v27
	v_fmac_f32_e32 v7, 0x3f68dda4, v47
	v_fmamk_f32 v8, v47, 0x3f7d64f0, v5
	v_add_f32_e32 v1, v1, v26
	v_sub_f32_e32 v18, v81, v77
	v_mul_f32_e32 v23, 0x3f575c64, v4
	v_fmac_f32_e32 v5, 0xbf7d64f0, v47
	v_add_f32_e32 v77, v7, v19
	v_add_f32_e32 v1, v1, v17
	v_mul_f32_e32 v19, 0xbf27a4f4, v4
	v_fmamk_f32 v7, v18, 0x3f0a6770, v23
	v_add_f32_e32 v84, v5, v6
	v_mul_f32_e32 v5, 0x3ed4b147, v4
	v_fmac_f32_e32 v23, 0xbf0a6770, v18
	v_mul_f32_e32 v6, 0xbe11bafb, v4
	v_mul_f32_e32 v4, 0xbf75a155, v4
	v_add_f32_e32 v17, v78, v17
	v_add_f32_e32 v81, v8, v22
	;; [unrolled: 1-line block ×4, first 2 shown]
	v_fmamk_f32 v7, v18, 0x3f68dda4, v5
	v_add_f32_e32 v8, v2, v23
	v_fmac_f32_e32 v5, 0xbf68dda4, v18
	v_fmamk_f32 v22, v18, 0x3f7d64f0, v6
	v_fmac_f32_e32 v6, 0xbf7d64f0, v18
	v_fmamk_f32 v23, v18, 0x3f4178ce, v19
	;; [unrolled: 2-line block ×3, first 2 shown]
	v_sub_f32_e32 v25, v75, v72
	v_mul_f32_e32 v27, 0x3ed4b147, v17
	v_fmac_f32_e32 v4, 0xbe903f40, v18
	v_add_f32_e32 v7, v2, v7
	v_add_f32_e32 v5, v2, v5
	;; [unrolled: 1-line block ×7, first 2 shown]
	v_mul_f32_e32 v24, 0xbf27a4f4, v17
	v_fmamk_f32 v28, v25, 0x3f68dda4, v27
	v_add_f32_e32 v2, v2, v4
	v_fmac_f32_e32 v27, 0xbf68dda4, v25
	v_mul_f32_e32 v4, 0xbf75a155, v17
	v_fmamk_f32 v29, v25, 0x3f4178ce, v24
	v_fmac_f32_e32 v24, 0xbf4178ce, v25
	v_add_f32_e32 v1, v28, v1
	v_add_f32_e32 v8, v27, v8
	v_fmamk_f32 v27, v25, 0xbe903f40, v4
	v_fmac_f32_e32 v4, 0x3e903f40, v25
	v_add_f32_e32 v5, v24, v5
	v_mul_f32_e32 v24, 0xbe11bafb, v17
	v_mul_f32_e32 v17, 0x3f575c64, v17
	v_add_f32_e32 v7, v29, v7
	v_add_f32_e32 v4, v4, v6
	;; [unrolled: 1-line block ×4, first 2 shown]
	v_fmamk_f32 v26, v25, 0xbf7d64f0, v24
	v_fmac_f32_e32 v24, 0x3f7d64f0, v25
	v_fmamk_f32 v27, v25, 0xbf0a6770, v17
	v_sub_f32_e32 v28, v66, v45
	v_mul_f32_e32 v29, 0xbe11bafb, v6
	v_fmac_f32_e32 v17, 0x3f0a6770, v25
	v_add_f32_e32 v18, v24, v18
	v_mul_f32_e32 v25, 0xbf75a155, v6
	v_add_f32_e32 v23, v26, v23
	v_fmamk_f32 v24, v28, 0x3f7d64f0, v29
	v_add_f32_e32 v2, v17, v2
	v_mul_f32_e32 v17, 0x3ed4b147, v6
	v_fmac_f32_e32 v29, 0xbf7d64f0, v28
	v_add_f32_e32 v19, v27, v19
	v_add_f32_e32 v1, v24, v1
	v_fmamk_f32 v24, v28, 0xbe903f40, v25
	v_fmamk_f32 v26, v28, 0xbf68dda4, v17
	v_fmac_f32_e32 v17, 0x3f68dda4, v28
	v_fmac_f32_e32 v25, 0x3e903f40, v28
	v_add_f32_e32 v8, v29, v8
	v_add_f32_e32 v7, v24, v7
	v_mul_f32_e32 v24, 0x3f575c64, v6
	v_add_f32_e32 v4, v17, v4
	v_add_f32_e32 v17, v42, v21
	v_mul_f32_e32 v6, 0xbf27a4f4, v6
	v_add_f32_e32 v5, v25, v5
	v_add_f32_e32 v22, v26, v22
	v_fmamk_f32 v21, v28, 0x3f0a6770, v24
	v_fmac_f32_e32 v24, 0xbf0a6770, v28
	v_mul_f32_e32 v25, 0xbf27a4f4, v17
	v_fmamk_f32 v26, v28, 0x3f4178ce, v6
	v_fmac_f32_e32 v6, 0xbf4178ce, v28
	v_add_f32_e32 v21, v21, v23
	v_add_f32_e32 v18, v24, v18
	v_fmamk_f32 v23, v20, 0x3f4178ce, v25
	v_mul_f32_e32 v24, 0xbe11bafb, v17
	v_fmac_f32_e32 v25, 0xbf4178ce, v20
	v_add_f32_e32 v2, v6, v2
	v_mul_f32_e32 v6, 0x3f575c64, v17
	v_add_f32_e32 v19, v26, v19
	v_add_f32_e32 v1, v23, v1
	v_fmamk_f32 v23, v20, 0xbf7d64f0, v24
	v_add_f32_e32 v8, v25, v8
	v_mul_f32_e32 v25, 0xbf75a155, v17
	v_fmamk_f32 v26, v20, 0x3f0a6770, v6
	v_fmac_f32_e32 v6, 0xbf0a6770, v20
	v_fmac_f32_e32 v24, 0x3f7d64f0, v20
	v_add_f32_e32 v7, v23, v7
	v_fmamk_f32 v23, v20, 0x3e903f40, v25
	v_mul_f32_e32 v17, 0x3ed4b147, v17
	v_add_f32_e32 v4, v6, v4
	v_add_f32_e32 v6, v40, v30
	;; [unrolled: 1-line block ×4, first 2 shown]
	v_fmac_f32_e32 v25, 0xbe903f40, v20
	v_fmamk_f32 v23, v20, 0xbf68dda4, v17
	v_sub_f32_e32 v3, v3, v41
	v_mul_f32_e32 v24, 0xbf75a155, v6
	v_fmac_f32_e32 v17, 0x3f68dda4, v20
	v_mul_f32_e32 v20, 0x3f575c64, v6
	v_add_f32_e32 v18, v25, v18
	v_add_f32_e32 v19, v23, v19
	v_fmamk_f32 v23, v3, 0x3e903f40, v24
	v_add_f32_e32 v2, v17, v2
	v_mul_f32_e32 v17, 0xbf27a4f4, v6
	v_fmamk_f32 v25, v3, 0xbf0a6770, v20
	v_fmac_f32_e32 v20, 0x3f0a6770, v3
	v_add_f32_e32 v22, v26, v22
	v_add_f32_e32 v75, v23, v1
	v_fmamk_f32 v1, v3, 0x3f4178ce, v17
	v_add_f32_e32 v88, v25, v7
	v_mul_f32_e32 v7, 0x3ed4b147, v6
	v_add_f32_e32 v95, v20, v5
	v_mul_f32_e32 v5, 0xbe11bafb, v6
	v_fmac_f32_e32 v24, 0xbe903f40, v3
	v_add_f32_e32 v96, v1, v22
	v_fmac_f32_e32 v17, 0xbf4178ce, v3
	v_fmamk_f32 v1, v3, 0xbf68dda4, v7
	v_fmac_f32_e32 v7, 0x3f68dda4, v3
	v_fmamk_f32 v6, v3, 0x3f7d64f0, v5
	v_fmac_f32_e32 v5, 0xbf7d64f0, v3
	v_add_nc_u32_e32 v60, 0x400, v33
	v_add_nc_u32_e32 v59, 0xc00, v33
	;; [unrolled: 1-line block ×7, first 2 shown]
	v_add_f32_e32 v78, v24, v8
	v_add_f32_e32 v97, v17, v4
	;; [unrolled: 1-line block ×5, first 2 shown]
	s_waitcnt lgkmcnt(0)
	s_barrier
	buffer_gl0_inv
	ds_read2_b32 v[7:8], v33 offset1:55
	ds_read2_b32 v[1:2], v60 offset0:74 offset1:129
	ds_read2_b32 v[48:49], v59 offset0:2 offset1:57
	;; [unrolled: 1-line block ×9, first 2 shown]
	v_add_nc_u32_e32 v67, 0xe00, v33
	v_add_nc_u32_e32 v68, 0x1a00, v33
	v_add_f32_e32 v110, v6, v19
	ds_read2_b32 v[42:43], v70 offset0:38 offset1:93
	ds_read2_b32 v[40:41], v71 offset0:40 offset1:95
	;; [unrolled: 1-line block ×7, first 2 shown]
	ds_read_b32 v72, v33 offset:7480
	s_waitcnt lgkmcnt(0)
	s_barrier
	buffer_gl0_inv
	ds_write2_b32 v10, v74, v102 offset1:7
	ds_write2_b32 v10, v103, v106 offset0:14 offset1:21
	ds_write2_b32 v10, v107, v98 offset0:28 offset1:35
	ds_write2_b32 v10, v100, v80 offset0:42 offset1:49
	ds_write2_b32 v10, v105, v104 offset0:56 offset1:63
	ds_write_b32 v10, v101 offset:280
	ds_write2_b32 v11, v108, v73 offset1:7
	ds_write2_b32 v11, v79, v83 offset0:14 offset1:21
	ds_write2_b32 v11, v86, v81 offset0:28 offset1:35
	ds_write2_b32 v11, v84, v77 offset0:42 offset1:49
	ds_write2_b32 v11, v85, v82 offset0:56 offset1:63
	ds_write_b32 v11, v76 offset:280
	ds_write2_b32 v69, v87, v75 offset1:7
	ds_write2_b32 v69, v88, v96 offset0:14 offset1:21
	ds_write2_b32 v69, v99, v110 offset0:28 offset1:35
	ds_write2_b32 v69, v111, v109 offset0:42 offset1:49
	ds_write2_b32 v69, v97, v95 offset0:56 offset1:63
	ds_write_b32 v69, v78 offset:280
	s_and_saveexec_b32 s1, s0
	s_cbranch_execz .LBB0_19
; %bb.18:
	v_add_f32_e32 v10, v0, v65
	v_add_f32_e32 v11, v65, v57
	v_sub_f32_e32 v55, v55, v62
	v_add_f32_e32 v62, v61, v58
	v_sub_f32_e32 v52, v52, v56
	v_add_f32_e32 v10, v10, v61
	v_mul_f32_e32 v56, 0x3f575c64, v11
	v_mul_f32_e32 v61, 0x3ed4b147, v11
	v_mul_f32_e32 v65, 0xbe11bafb, v11
	v_mul_f32_e32 v69, 0xbf27a4f4, v11
	v_add_f32_e32 v10, v10, v16
	v_mul_f32_e32 v11, 0xbf75a155, v11
	v_mul_f32_e32 v73, 0x3ed4b147, v62
	v_fmamk_f32 v76, v55, 0x3f0a6770, v56
	v_fmac_f32_e32 v56, 0xbf0a6770, v55
	v_add_f32_e32 v10, v10, v14
	v_mul_f32_e32 v74, 0xbf27a4f4, v62
	v_fmamk_f32 v77, v55, 0x3f68dda4, v61
	v_fmac_f32_e32 v61, 0xbf68dda4, v55
	v_fmamk_f32 v78, v55, 0x3f7d64f0, v65
	v_add_f32_e32 v10, v10, v12
	v_fmac_f32_e32 v65, 0xbf7d64f0, v55
	v_fmamk_f32 v79, v55, 0x3f4178ce, v69
	v_fmac_f32_e32 v69, 0xbf4178ce, v55
	v_fmamk_f32 v80, v55, 0x3e903f40, v11
	v_add_f32_e32 v10, v10, v13
	v_fmac_f32_e32 v11, 0xbe903f40, v55
	v_fmamk_f32 v55, v52, 0x3f68dda4, v73
	v_fmac_f32_e32 v73, 0xbf68dda4, v52
	v_add_f32_e32 v76, v0, v76
	v_add_f32_e32 v10, v10, v15
	;; [unrolled: 1-line block ×3, first 2 shown]
	v_mul_f32_e32 v75, 0xbf75a155, v62
	v_fmamk_f32 v81, v52, 0x3f4178ce, v74
	v_add_f32_e32 v77, v0, v77
	v_add_f32_e32 v10, v10, v53
	;; [unrolled: 1-line block ×11, first 2 shown]
	v_fmac_f32_e32 v74, 0xbf4178ce, v52
	v_add_f32_e32 v55, v73, v56
	v_mul_f32_e32 v73, 0xbe11bafb, v62
	v_mul_f32_e32 v62, 0x3f575c64, v62
	v_add_f32_e32 v16, v16, v53
	v_add_f32_e32 v61, v74, v61
	v_sub_f32_e32 v37, v39, v37
	v_fmamk_f32 v53, v52, 0xbf7d64f0, v73
	v_fmac_f32_e32 v73, 0x3f7d64f0, v52
	v_fmamk_f32 v74, v52, 0xbf0a6770, v62
	v_mul_f32_e32 v39, 0xbe11bafb, v16
	v_fmamk_f32 v56, v52, 0xbe903f40, v75
	v_fmac_f32_e32 v75, 0x3e903f40, v52
	v_fmac_f32_e32 v62, 0x3f0a6770, v52
	v_add_f32_e32 v52, v73, v58
	v_add_f32_e32 v58, v74, v69
	v_fmamk_f32 v69, v37, 0x3f7d64f0, v39
	v_mul_f32_e32 v73, 0xbf75a155, v16
	v_add_f32_e32 v10, v10, v57
	v_add_f32_e32 v57, v81, v77
	;; [unrolled: 1-line block ×4, first 2 shown]
	v_fmamk_f32 v69, v37, 0xbe903f40, v73
	v_fmac_f32_e32 v39, 0xbf7d64f0, v37
	v_mul_f32_e32 v62, 0x3ed4b147, v16
	v_add_f32_e32 v14, v14, v15
	v_add_f32_e32 v56, v56, v78
	;; [unrolled: 1-line block ×3, first 2 shown]
	v_mul_f32_e32 v69, 0x3f575c64, v16
	v_add_f32_e32 v65, v75, v65
	v_add_f32_e32 v39, v39, v55
	v_fmamk_f32 v55, v37, 0xbf68dda4, v62
	v_fmac_f32_e32 v62, 0x3f68dda4, v37
	v_mul_f32_e32 v15, 0xbf27a4f4, v16
	v_fmamk_f32 v16, v37, 0x3f0a6770, v69
	v_fmac_f32_e32 v69, 0xbf0a6770, v37
	v_sub_f32_e32 v36, v38, v36
	v_mul_f32_e32 v38, 0xbf27a4f4, v14
	v_add_f32_e32 v53, v53, v79
	v_fmac_f32_e32 v73, 0x3e903f40, v37
	v_add_f32_e32 v55, v55, v56
	v_add_f32_e32 v56, v62, v65
	v_fmamk_f32 v62, v37, 0x3f4178ce, v15
	v_fmac_f32_e32 v15, 0xbf4178ce, v37
	v_add_f32_e32 v37, v69, v52
	v_fmamk_f32 v52, v36, 0x3f4178ce, v38
	v_fmac_f32_e32 v38, 0xbf4178ce, v36
	v_add_f32_e32 v16, v16, v53
	v_add_f32_e32 v53, v62, v58
	v_mul_f32_e32 v58, 0xbe11bafb, v14
	v_add_f32_e32 v0, v15, v0
	v_mul_f32_e32 v15, 0x3f575c64, v14
	;; [unrolled: 2-line block ×3, first 2 shown]
	v_mul_f32_e32 v14, 0x3ed4b147, v14
	v_add_f32_e32 v61, v73, v61
	v_add_f32_e32 v11, v52, v11
	v_fmamk_f32 v52, v36, 0xbf7d64f0, v58
	v_fmac_f32_e32 v58, 0x3f7d64f0, v36
	v_add_f32_e32 v12, v12, v13
	v_fmamk_f32 v13, v36, 0xbf68dda4, v14
	v_fmac_f32_e32 v14, 0x3f68dda4, v36
	v_fmamk_f32 v62, v36, 0x3f0a6770, v15
	v_add_f32_e32 v52, v52, v57
	v_add_f32_e32 v57, v58, v61
	v_fmac_f32_e32 v15, 0xbf0a6770, v36
	v_fmamk_f32 v58, v36, 0x3e903f40, v39
	v_fmac_f32_e32 v39, 0xbe903f40, v36
	v_sub_f32_e32 v9, v9, v31
	v_mul_f32_e32 v31, 0xbf75a155, v12
	v_mul_f32_e32 v36, 0x3f575c64, v12
	v_add_f32_e32 v0, v14, v0
	v_mul_f32_e32 v14, 0xbf27a4f4, v12
	v_add_f32_e32 v55, v62, v55
	v_add_f32_e32 v15, v15, v56
	;; [unrolled: 1-line block ×4, first 2 shown]
	v_fmamk_f32 v39, v9, 0x3e903f40, v31
	v_fmac_f32_e32 v31, 0xbe903f40, v9
	v_fmamk_f32 v53, v9, 0xbf0a6770, v36
	v_fmamk_f32 v56, v9, 0x3f4178ce, v14
	v_fmac_f32_e32 v36, 0x3f0a6770, v9
	v_add_f32_e32 v11, v39, v11
	v_add_f32_e32 v31, v31, v38
	;; [unrolled: 1-line block ×4, first 2 shown]
	v_mul_f32_e32 v52, 0x3ed4b147, v12
	v_mov_b32_e32 v53, 0x134
	v_mov_b32_e32 v55, 2
	v_mul_f32_e32 v12, 0xbe11bafb, v12
	v_add_f32_e32 v16, v58, v16
	v_fmamk_f32 v56, v9, 0xbf68dda4, v52
	v_mul_u32_u24_sdwa v53, v93, v53 dst_sel:DWORD dst_unused:UNUSED_PAD src0_sel:WORD_0 src1_sel:DWORD
	v_lshlrev_b32_sdwa v55, v55, v94 dst_sel:DWORD dst_unused:UNUSED_PAD src0_sel:DWORD src1_sel:BYTE_0
	v_add_f32_e32 v36, v36, v57
	v_fmamk_f32 v57, v9, 0x3f7d64f0, v12
	v_fmac_f32_e32 v52, 0x3f68dda4, v9
	v_fmac_f32_e32 v12, 0xbf7d64f0, v9
	;; [unrolled: 1-line block ×3, first 2 shown]
	v_add_f32_e32 v9, v56, v16
	v_add3_u32 v16, 0, v53, v55
	v_add_f32_e32 v13, v57, v13
	v_add_f32_e32 v37, v52, v37
	;; [unrolled: 1-line block ×4, first 2 shown]
	ds_write2_b32 v16, v10, v11 offset1:7
	ds_write2_b32 v16, v38, v39 offset0:14 offset1:21
	ds_write2_b32 v16, v9, v13 offset0:28 offset1:35
	;; [unrolled: 1-line block ×4, first 2 shown]
	ds_write_b32 v16, v31 offset:280
.LBB0_19:
	s_or_b32 exec_lo, exec_lo, s1
	v_lshlrev_b32_e32 v36, 2, v32
	v_mov_b32_e32 v37, 0
	v_mul_lo_u16 v0, 0xd5, v54
	v_mov_b32_e32 v11, 5
	s_waitcnt lgkmcnt(0)
	s_barrier
	v_lshlrev_b64 v[9:10], 3, v[36:37]
	v_lshrrev_b16 v31, 14, v0
	v_subrev_nc_u32_e32 v0, 22, v32
	buffer_gl0_inv
	v_add_nc_u32_e32 v77, 0xdc, v32
	v_add_nc_u32_e32 v76, 0x14a, v32
	v_add_co_u32 v38, s0, s8, v9
	v_add_co_ci_u32_e64 v39, s0, s9, v10, s0
	v_cmp_gt_u32_e64 s0, 22, v32
	v_mul_lo_u16 v9, 0x4d, v31
	v_mov_b32_e32 v69, 2
	s_clause 0x1
	global_load_dwordx4 v[78:81], v[38:39], off offset:560
	global_load_dwordx4 v[82:85], v[38:39], off offset:576
	v_cndmask_b32_e64 v0, v0, v89, s0
	v_sub_nc_u16 v56, v90, v9
	v_lshlrev_b32_e32 v36, 2, v0
	v_lshlrev_b32_sdwa v0, v11, v56 dst_sel:DWORD dst_unused:UNUSED_PAD src0_sel:DWORD src1_sel:BYTE_0
	v_lshlrev_b32_sdwa v58, v69, v56 dst_sel:DWORD dst_unused:UNUSED_PAD src0_sel:DWORD src1_sel:BYTE_0
	v_lshlrev_b64 v[9:10], 3, v[36:37]
	global_load_dwordx4 v[93:96], v0, s[8:9] offset:560
	v_add_co_u32 v9, s0, s8, v9
	v_add_co_ci_u32_e64 v10, s0, s9, v10, s0
	s_clause 0x1
	global_load_dwordx4 v[97:100], v0, s[8:9] offset:576
	global_load_dwordx4 v[101:104], v[9:10], off offset:560
	v_mul_lo_u16 v0, 0xd5, v92
	global_load_dwordx4 v[105:108], v[9:10], off offset:576
	v_cmp_lt_u32_e64 s0, 21, v32
	v_lshrrev_b16 v0, 14, v0
	v_mul_lo_u16 v0, 0x4d, v0
	v_sub_nc_u16 v12, v91, v0
	v_add_nc_u32_e32 v0, 0x113, v32
	v_and_b32_e32 v53, 0xff, v12
	v_lshlrev_b32_e32 v13, 5, v53
	global_load_dwordx4 v[113:116], v13, s[8:9] offset:576
	v_mov_b32_e32 v9, 0x1a99
	global_load_dwordx4 v[109:112], v13, s[8:9] offset:560
	v_mul_u32_u24_sdwa v10, v77, v9 dst_sel:DWORD dst_unused:UNUSED_PAD src0_sel:WORD_0 src1_sel:DWORD
	v_lshrrev_b32_e32 v52, 19, v10
	v_mul_u32_u24_sdwa v10, v0, v9 dst_sel:DWORD dst_unused:UNUSED_PAD src0_sel:WORD_0 src1_sel:DWORD
	v_mul_u32_u24_sdwa v9, v76, v9 dst_sel:DWORD dst_unused:UNUSED_PAD src0_sel:WORD_0 src1_sel:DWORD
	v_mul_lo_u16 v12, 0x4d, v52
	v_lshrrev_b32_e32 v54, 19, v10
	v_lshrrev_b32_e32 v9, 19, v9
	v_sub_nc_u16 v57, v77, v12
	v_mul_lo_u16 v10, 0x4d, v54
	v_mul_lo_u16 v9, 0x4d, v9
	v_lshlrev_b32_sdwa v12, v11, v57 dst_sel:DWORD dst_unused:UNUSED_PAD src0_sel:DWORD src1_sel:WORD_0
	v_sub_nc_u16 v65, v0, v10
	v_sub_nc_u16 v9, v76, v9
	v_lshlrev_b32_sdwa v57, v69, v57 dst_sel:DWORD dst_unused:UNUSED_PAD src0_sel:DWORD src1_sel:WORD_0
	global_load_dwordx4 v[117:120], v12, s[8:9] offset:560
	v_lshlrev_b32_sdwa v10, v11, v65 dst_sel:DWORD dst_unused:UNUSED_PAD src0_sel:DWORD src1_sel:WORD_0
	v_and_b32_e32 v55, 0xffff, v9
	s_clause 0x2
	global_load_dwordx4 v[121:124], v12, s[8:9] offset:576
	global_load_dwordx4 v[125:128], v10, s[8:9] offset:560
	;; [unrolled: 1-line block ×3, first 2 shown]
	v_lshlrev_b32_sdwa v56, v69, v65 dst_sel:DWORD dst_unused:UNUSED_PAD src0_sel:DWORD src1_sel:WORD_0
	v_lshlrev_b32_e32 v9, 5, v55
	s_clause 0x1
	global_load_dwordx4 v[133:136], v9, s[8:9] offset:560
	global_load_dwordx4 v[137:140], v9, s[8:9] offset:576
	ds_read2_b32 v[11:12], v33 offset1:55
	ds_read2_b32 v[9:10], v60 offset0:74 offset1:129
	ds_read2_b32 v[73:74], v59 offset0:2 offset1:57
	;; [unrolled: 1-line block ×16, first 2 shown]
	ds_read_b32 v75, v33 offset:7480
	s_waitcnt vmcnt(0) lgkmcnt(0)
	s_barrier
	buffer_gl0_inv
	v_mul_f32_e32 v65, v10, v79
	v_mul_f32_e32 v69, v2, v79
	;; [unrolled: 1-line block ×8, first 2 shown]
	v_fmac_f32_e32 v65, v2, v78
	v_fma_f32 v2, v10, v78, -v69
	v_fmac_f32_e32 v79, v48, v80
	v_fma_f32 v69, v73, v80, -v81
	v_fmac_f32_e32 v88, v18, v82
	v_fmac_f32_e32 v92, v44, v84
	v_fma_f32 v80, v86, v84, -v85
	v_fma_f32 v73, v62, v82, -v83
	v_mul_f32_e32 v81, v142, v94
	v_mul_f32_e32 v10, v51, v94
	;; [unrolled: 1-line block ×4, first 2 shown]
	v_add_f32_e32 v164, v65, v92
	v_add_f32_e32 v167, v11, v2
	;; [unrolled: 1-line block ×3, first 2 shown]
	v_mul_f32_e32 v86, v144, v98
	v_mul_f32_e32 v44, v47, v98
	;; [unrolled: 1-line block ×11, first 2 shown]
	v_add_f32_e32 v106, v79, v88
	v_mul_f32_e32 v85, v45, v108
	v_add_f32_e32 v104, v7, v65
	v_sub_f32_e32 v161, v69, v73
	v_add_f32_e32 v168, v69, v73
	v_sub_f32_e32 v169, v79, v88
	v_sub_f32_e32 v170, v2, v69
	;; [unrolled: 1-line block ×3, first 2 shown]
	v_fmac_f32_e32 v81, v51, v93
	v_fma_f32 v51, v142, v93, -v10
	v_fmac_f32_e32 v82, v29, v95
	v_fma_f32 v93, v145, v95, -v18
	;; [unrolled: 2-line block ×4, first 2 shown]
	v_fmac_f32_e32 v96, v50, v101
	v_fmac_f32_e32 v98, v49, v103
	v_fma_f32 v74, v74, v103, -v83
	v_fmac_f32_e32 v100, v46, v105
	v_fmac_f32_e32 v102, v45, v107
	v_mul_f32_e32 v142, v151, v114
	v_mul_f32_e32 v114, v40, v114
	;; [unrolled: 1-line block ×8, first 2 shown]
	v_fma_f32 v10, -0.5, v106, v7
	v_fma_f32 v18, -0.5, v164, v7
	v_add_f32_e32 v69, v167, v69
	v_fma_f32 v7, -0.5, v172, v11
	v_sub_f32_e32 v108, v2, v80
	v_sub_f32_e32 v162, v65, v79
	;; [unrolled: 1-line block ×7, first 2 shown]
	v_fma_f32 v101, v141, v101, -v78
	v_fma_f32 v105, v143, v105, -v84
	;; [unrolled: 1-line block ×3, first 2 shown]
	v_add_f32_e32 v45, v104, v79
	v_fma_f32 v2, -0.5, v168, v11
	v_fmac_f32_e32 v99, v42, v109
	v_fma_f32 v109, v149, v109, -v25
	v_fmac_f32_e32 v110, v30, v111
	v_fma_f32 v111, v146, v111, -v112
	;; [unrolled: 2-line block ×3, first 2 shown]
	v_fmac_f32_e32 v144, v26, v115
	v_mul_f32_e32 v62, v150, v118
	v_mul_f32_e32 v50, v43, v118
	;; [unrolled: 1-line block ×16, first 2 shown]
	v_fma_f32 v113, v148, v115, -v116
	v_fmac_f32_e32 v62, v43, v117
	v_fma_f32 v78, v150, v117, -v50
	v_fmac_f32_e32 v48, v27, v119
	v_fma_f32 v85, v152, v121, -v120
	v_fmac_f32_e32 v83, v23, v123
	v_fma_f32 v103, v155, v123, -v103
	v_fmac_f32_e32 v47, v21, v125
	v_fma_f32 v26, v157, v125, -v122
	v_fmac_f32_e32 v29, v28, v127
	v_fma_f32 v27, v154, v127, -v124
	v_fmac_f32_e32 v44, v19, v129
	v_fma_f32 v28, v159, v129, -v126
	v_mul_f32_e32 v21, v158, v134
	v_mul_f32_e32 v42, v22, v134
	;; [unrolled: 1-line block ×6, first 2 shown]
	v_add_f32_e32 v116, v3, v81
	v_add_f32_e32 v117, v82, v86
	v_sub_f32_e32 v120, v81, v82
	v_add_f32_e32 v122, v81, v94
	v_sub_f32_e32 v123, v82, v81
	v_add_f32_e32 v125, v15, v51
	v_add_f32_e32 v126, v93, v95
	v_sub_f32_e32 v127, v81, v94
	v_sub_f32_e32 v81, v51, v93
	;; [unrolled: 1-line block ×3, first 2 shown]
	v_fmamk_f32 v40, v161, 0x3f737871, v18
	v_fmac_f32_e32 v18, 0xbf737871, v161
	v_add_f32_e32 v73, v69, v73
	v_fmamk_f32 v25, v169, 0xbf737871, v7
	v_fmac_f32_e32 v7, 0x3f737871, v169
	v_add_f32_e32 v134, v8, v96
	v_add_f32_e32 v136, v98, v100
	;; [unrolled: 1-line block ×3, first 2 shown]
	v_sub_f32_e32 v163, v92, v88
	v_add_f32_e32 v104, v165, v166
	v_fma_f32 v84, v153, v119, -v118
	v_fmac_f32_e32 v46, v24, v131
	v_fma_f32 v30, v156, v131, -v128
	v_mul_f32_e32 v114, v20, v138
	v_mul_f32_e32 v23, v75, v140
	v_sub_f32_e32 v119, v93, v95
	v_sub_f32_e32 v124, v86, v94
	;; [unrolled: 1-line block ×4, first 2 shown]
	v_add_f32_e32 v88, v45, v88
	v_fmamk_f32 v24, v65, 0x3f737871, v2
	v_fmac_f32_e32 v2, 0xbf737871, v65
	v_sub_f32_e32 v138, v101, v87
	v_sub_f32_e32 v140, v74, v105
	v_add_f32_e32 v148, v12, v101
	v_add_f32_e32 v149, v74, v105
	;; [unrolled: 1-line block ×3, first 2 shown]
	v_fma_f32 v45, v158, v133, -v42
	v_fmac_f32_e32 v11, v17, v135
	v_fma_f32 v50, v61, v135, -v43
	v_fmac_f32_e32 v19, v20, v137
	v_fma_f32 v43, v75, v139, -v115
	v_add_f32_e32 v61, v116, v82
	v_fma_f32 v20, -0.5, v117, v3
	v_fma_f32 v42, -0.5, v122, v3
	v_add_f32_e32 v75, v125, v93
	v_fma_f32 v3, -0.5, v126, v15
	v_add_f32_e32 v93, v81, v129
	v_add_f32_e32 v81, v4, v99
	;; [unrolled: 1-line block ×3, first 2 shown]
	v_fmac_f32_e32 v40, 0xbf167918, v108
	v_fmac_f32_e32 v18, 0x3f167918, v108
	v_add_f32_e32 v17, v73, v80
	v_fmac_f32_e32 v25, 0x3f167918, v65
	v_fmac_f32_e32 v7, 0xbf167918, v65
	v_add_f32_e32 v80, v134, v98
	v_fma_f32 v65, -0.5, v136, v8
	v_fmac_f32_e32 v8, -0.5, v145
	v_fmac_f32_e32 v49, v41, v121
	v_sub_f32_e32 v121, v94, v86
	v_fmamk_f32 v41, v108, 0xbf737871, v10
	v_fmac_f32_e32 v10, 0x3f737871, v108
	v_sub_f32_e32 v141, v96, v98
	v_sub_f32_e32 v143, v102, v100
	;; [unrolled: 1-line block ×7, first 2 shown]
	v_fmac_f32_e32 v21, v22, v133
	v_add_f32_e32 v115, v123, v124
	v_add_f32_e32 v123, v99, v144
	;; [unrolled: 1-line block ×3, first 2 shown]
	v_fma_f32 v22, -0.5, v149, v12
	v_fmac_f32_e32 v12, -0.5, v153
	v_add_f32_e32 v86, v61, v86
	v_fmamk_f32 v74, v127, 0x3f737871, v3
	v_fmac_f32_e32 v3, 0xbf737871, v127
	v_add_f32_e32 v124, v81, v110
	v_fma_f32 v61, -0.5, v82, v4
	v_fmac_f32_e32 v40, 0x3e9e377a, v104
	v_fmac_f32_e32 v18, 0x3e9e377a, v104
	v_add_f32_e32 v82, v80, v100
	v_fmamk_f32 v100, v138, 0xbf737871, v65
	v_fmac_f32_e32 v65, 0x3f737871, v138
	v_fmamk_f32 v104, v140, 0x3f737871, v8
	v_fmac_f32_e32 v8, 0xbf737871, v140
	v_add_f32_e32 v79, v162, v163
	v_sub_f32_e32 v118, v51, v97
	v_add_f32_e32 v130, v51, v97
	v_sub_f32_e32 v132, v95, v97
	v_sub_f32_e32 v96, v96, v102
	v_fma_f32 v51, v160, v137, -v114
	v_add_f32_e32 v114, v120, v121
	v_sub_f32_e32 v117, v109, v113
	v_sub_f32_e32 v120, v111, v112
	v_add_f32_e32 v69, v88, v92
	v_fmac_f32_e32 v41, 0xbf167918, v161
	v_fmac_f32_e32 v10, 0x3f167918, v161
	v_add_f32_e32 v88, v141, v143
	v_add_f32_e32 v92, v146, v147
	;; [unrolled: 1-line block ×4, first 2 shown]
	v_fmamk_f32 v80, v150, 0xbf737871, v12
	v_fmac_f32_e32 v12, 0x3f737871, v150
	v_add_f32_e32 v86, v86, v94
	v_fmac_f32_e32 v74, 0x3f167918, v128
	v_fmac_f32_e32 v3, 0xbf167918, v128
	v_add_f32_e32 v94, v124, v142
	v_fmac_f32_e32 v100, 0xbf167918, v140
	v_fmac_f32_e32 v65, 0x3f167918, v140
	;; [unrolled: 1-line block ×4, first 2 shown]
	v_fmac_f32_e32 v4, -0.5, v123
	v_sub_f32_e32 v154, v105, v87
	v_sub_f32_e32 v121, v99, v110
	;; [unrolled: 1-line block ×3, first 2 shown]
	v_fmac_f32_e32 v41, 0x3e9e377a, v79
	v_fmac_f32_e32 v10, 0x3e9e377a, v79
	v_fmamk_f32 v79, v96, 0x3f737871, v22
	v_fmac_f32_e32 v22, 0xbf737871, v96
	v_add_f32_e32 v81, v95, v97
	v_fmamk_f32 v95, v117, 0xbf737871, v61
	v_add_f32_e32 v97, v82, v102
	v_add_f32_e32 v82, v98, v87
	v_fmac_f32_e32 v80, 0x3f167918, v96
	v_fmac_f32_e32 v12, 0xbf167918, v96
	;; [unrolled: 1-line block ×8, first 2 shown]
	v_add_f32_e32 v88, v94, v144
	v_fmac_f32_e32 v61, 0x3f737871, v117
	v_fmamk_f32 v92, v120, 0x3f737871, v4
	v_sub_f32_e32 v93, v110, v99
	v_sub_f32_e32 v94, v142, v144
	v_add_f32_e32 v96, v16, v109
	v_add_f32_e32 v98, v111, v112
	v_fmac_f32_e32 v4, 0xbf737871, v120
	v_add_f32_e32 v106, v170, v171
	v_sub_f32_e32 v152, v87, v105
	v_fmac_f32_e32 v24, 0x3f167918, v169
	v_fmac_f32_e32 v2, 0xbf167918, v169
	v_add_f32_e32 v101, v101, v154
	v_fmac_f32_e32 v95, 0xbf167918, v120
	v_add_f32_e32 v87, v121, v122
	v_fmac_f32_e32 v61, 0x3f167918, v120
	v_fmac_f32_e32 v92, 0xbf167918, v117
	v_add_f32_e32 v93, v93, v94
	v_add_f32_e32 v94, v96, v111
	v_fma_f32 v96, -0.5, v98, v16
	v_sub_f32_e32 v98, v99, v144
	v_fmac_f32_e32 v4, 0x3f167918, v117
	v_add_f32_e32 v99, v109, v113
	v_sub_f32_e32 v102, v109, v111
	v_sub_f32_e32 v105, v113, v112
	v_add_f32_e32 v107, v173, v174
	v_add_f32_e32 v108, v151, v152
	v_fmac_f32_e32 v24, 0x3e9e377a, v106
	v_fmac_f32_e32 v2, 0x3e9e377a, v106
	;; [unrolled: 1-line block ×9, first 2 shown]
	v_add_f32_e32 v87, v94, v112
	v_fmamk_f32 v94, v98, 0x3f737871, v96
	v_sub_f32_e32 v101, v110, v142
	v_fmac_f32_e32 v4, 0x3e9e377a, v93
	v_fmac_f32_e32 v16, -0.5, v99
	v_add_f32_e32 v93, v102, v105
	v_fmac_f32_e32 v96, 0xbf737871, v98
	v_sub_f32_e32 v102, v111, v109
	v_sub_f32_e32 v105, v112, v113
	v_add_f32_e32 v106, v48, v49
	v_fmac_f32_e32 v25, 0x3e9e377a, v107
	v_fmac_f32_e32 v7, 0x3e9e377a, v107
	;; [unrolled: 1-line block ×5, first 2 shown]
	v_fmamk_f32 v99, v101, 0xbf737871, v16
	v_fmac_f32_e32 v96, 0xbf167918, v101
	v_add_f32_e32 v102, v102, v105
	v_add_f32_e32 v105, v5, v62
	v_fma_f32 v106, -0.5, v106, v5
	v_sub_f32_e32 v107, v78, v103
	v_fmac_f32_e32 v16, 0x3f737871, v101
	v_sub_f32_e32 v108, v62, v48
	v_sub_f32_e32 v109, v83, v49
	v_add_f32_e32 v110, v62, v83
	v_fmac_f32_e32 v94, 0x3e9e377a, v93
	v_fmac_f32_e32 v99, 0x3f167918, v98
	;; [unrolled: 1-line block ×3, first 2 shown]
	v_add_f32_e32 v93, v105, v48
	v_fmamk_f32 v101, v107, 0xbf737871, v106
	v_sub_f32_e32 v105, v84, v85
	v_fmac_f32_e32 v16, 0xbf167918, v98
	v_add_f32_e32 v98, v108, v109
	v_fma_f32 v5, -0.5, v110, v5
	v_fmac_f32_e32 v106, 0x3f737871, v107
	v_sub_f32_e32 v108, v48, v62
	v_sub_f32_e32 v109, v49, v83
	v_add_f32_e32 v110, v13, v78
	v_add_f32_e32 v111, v84, v85
	v_fmac_f32_e32 v99, 0x3e9e377a, v102
	v_add_f32_e32 v93, v93, v49
	v_fmac_f32_e32 v101, 0xbf167918, v105
	v_fmac_f32_e32 v16, 0x3e9e377a, v102
	v_fmamk_f32 v102, v105, 0x3f737871, v5
	v_fmac_f32_e32 v106, 0x3f167918, v105
	v_add_f32_e32 v108, v108, v109
	v_fmac_f32_e32 v5, 0xbf737871, v105
	v_add_f32_e32 v105, v110, v84
	v_fma_f32 v109, -0.5, v111, v13
	v_sub_f32_e32 v62, v62, v83
	v_add_f32_e32 v93, v93, v83
	v_fmac_f32_e32 v101, 0x3e9e377a, v98
	v_fmac_f32_e32 v102, 0xbf167918, v107
	;; [unrolled: 1-line block ×4, first 2 shown]
	v_add_f32_e32 v83, v105, v85
	v_fmamk_f32 v98, v62, 0x3f737871, v109
	v_add_f32_e32 v105, v78, v103
	v_sub_f32_e32 v48, v48, v49
	v_sub_f32_e32 v49, v78, v84
	v_sub_f32_e32 v107, v103, v85
	v_fmac_f32_e32 v109, 0xbf737871, v62
	v_sub_f32_e32 v78, v84, v78
	v_sub_f32_e32 v84, v85, v103
	v_add_f32_e32 v85, v29, v44
	v_fma_f32 v13, -0.5, v105, v13
	v_add_f32_e32 v83, v83, v103
	v_fmac_f32_e32 v98, 0x3f167918, v48
	v_add_f32_e32 v49, v49, v107
	v_fmac_f32_e32 v109, 0xbf167918, v48
	v_add_f32_e32 v78, v78, v84
	v_add_f32_e32 v84, v6, v47
	v_fma_f32 v85, -0.5, v85, v6
	v_sub_f32_e32 v103, v26, v30
	v_fmac_f32_e32 v102, 0x3e9e377a, v108
	v_fmac_f32_e32 v5, 0x3e9e377a, v108
	v_fmamk_f32 v105, v48, 0xbf737871, v13
	v_fmac_f32_e32 v98, 0x3e9e377a, v49
	v_fmac_f32_e32 v109, 0x3e9e377a, v49
	;; [unrolled: 1-line block ×3, first 2 shown]
	v_add_f32_e32 v48, v84, v29
	v_fmamk_f32 v49, v103, 0xbf737871, v85
	v_sub_f32_e32 v84, v27, v28
	v_sub_f32_e32 v107, v47, v29
	;; [unrolled: 1-line block ×3, first 2 shown]
	v_add_f32_e32 v110, v47, v46
	v_fmac_f32_e32 v85, 0x3f737871, v103
	v_fmac_f32_e32 v105, 0x3f167918, v62
	;; [unrolled: 1-line block ×3, first 2 shown]
	v_add_f32_e32 v48, v48, v44
	v_fmac_f32_e32 v49, 0xbf167918, v84
	v_add_f32_e32 v62, v107, v108
	v_fmac_f32_e32 v6, -0.5, v110
	v_sub_f32_e32 v107, v29, v47
	v_sub_f32_e32 v108, v44, v46
	v_fmac_f32_e32 v85, 0x3f167918, v84
	v_add_f32_e32 v110, v14, v26
	v_add_f32_e32 v111, v27, v28
	v_fmac_f32_e32 v105, 0x3e9e377a, v78
	v_fmac_f32_e32 v13, 0x3e9e377a, v78
	v_add_f32_e32 v48, v48, v46
	v_fmac_f32_e32 v49, 0x3e9e377a, v62
	v_fmamk_f32 v78, v84, 0x3f737871, v6
	v_add_f32_e32 v107, v107, v108
	v_fmac_f32_e32 v6, 0xbf737871, v84
	v_add_f32_e32 v84, v110, v27
	v_fma_f32 v108, -0.5, v111, v14
	v_sub_f32_e32 v46, v47, v46
	v_fmac_f32_e32 v85, 0x3e9e377a, v62
	v_add_f32_e32 v62, v26, v30
	v_sub_f32_e32 v29, v29, v44
	v_sub_f32_e32 v44, v26, v27
	;; [unrolled: 1-line block ×4, first 2 shown]
	v_fmac_f32_e32 v23, v72, v139
	v_fmac_f32_e32 v78, 0xbf167918, v103
	;; [unrolled: 1-line block ×3, first 2 shown]
	v_add_f32_e32 v47, v84, v28
	v_fmamk_f32 v84, v46, 0x3f737871, v108
	v_sub_f32_e32 v103, v30, v28
	v_fmac_f32_e32 v14, -0.5, v62
	v_fmac_f32_e32 v108, 0xbf737871, v46
	v_add_f32_e32 v28, v11, v19
	v_add_f32_e32 v26, v26, v27
	;; [unrolled: 1-line block ×3, first 2 shown]
	v_fmac_f32_e32 v84, 0x3f167918, v29
	v_add_f32_e32 v44, v44, v103
	v_fmamk_f32 v103, v29, 0xbf737871, v14
	v_fmac_f32_e32 v108, 0xbf167918, v29
	v_fmac_f32_e32 v14, 0x3f737871, v29
	v_fma_f32 v28, -0.5, v28, v1
	v_sub_f32_e32 v29, v45, v43
	v_add_f32_e32 v27, v27, v11
	v_add_f32_e32 v62, v21, v23
	v_fmac_f32_e32 v78, 0x3e9e377a, v107
	v_fmac_f32_e32 v6, 0x3e9e377a, v107
	v_add_f32_e32 v107, v47, v30
	v_fmac_f32_e32 v84, 0x3e9e377a, v44
	v_fmac_f32_e32 v103, 0x3f167918, v46
	;; [unrolled: 1-line block ×4, first 2 shown]
	v_fmamk_f32 v30, v29, 0xbf737871, v28
	v_sub_f32_e32 v44, v50, v51
	v_sub_f32_e32 v46, v21, v11
	;; [unrolled: 1-line block ×3, first 2 shown]
	v_fmac_f32_e32 v28, 0x3f737871, v29
	v_add_f32_e32 v27, v27, v19
	v_fmac_f32_e32 v1, -0.5, v62
	v_fmac_f32_e32 v103, 0x3e9e377a, v26
	v_fmac_f32_e32 v30, 0xbf167918, v44
	v_add_f32_e32 v46, v46, v47
	v_fmac_f32_e32 v28, 0x3f167918, v44
	v_fmac_f32_e32 v14, 0x3e9e377a, v26
	v_add_f32_e32 v26, v27, v23
	v_fmamk_f32 v27, v44, 0x3f737871, v1
	v_fmac_f32_e32 v1, 0xbf737871, v44
	v_add_f32_e32 v44, v9, v45
	v_fmac_f32_e32 v30, 0x3e9e377a, v46
	v_fmac_f32_e32 v28, 0x3e9e377a, v46
	v_add_f32_e32 v46, v50, v51
	v_sub_f32_e32 v47, v11, v21
	v_sub_f32_e32 v62, v19, v23
	v_fmac_f32_e32 v27, 0xbf167918, v29
	v_fmac_f32_e32 v1, 0x3f167918, v29
	v_add_f32_e32 v29, v44, v50
	v_add_f32_e32 v44, v45, v43
	v_fma_f32 v110, -0.5, v46, v9
	v_sub_f32_e32 v21, v21, v23
	v_add_f32_e32 v23, v47, v62
	v_sub_f32_e32 v11, v11, v19
	v_fmac_f32_e32 v9, -0.5, v44
	v_sub_f32_e32 v44, v50, v45
	v_fmamk_f32 v111, v21, 0x3f737871, v110
	v_fmac_f32_e32 v27, 0x3e9e377a, v23
	v_fmac_f32_e32 v1, 0x3e9e377a, v23
	v_sub_f32_e32 v23, v45, v50
	v_fmac_f32_e32 v110, 0xbf737871, v21
	v_fmamk_f32 v112, v11, 0xbf737871, v9
	v_sub_f32_e32 v45, v51, v43
	v_fmac_f32_e32 v9, 0x3f737871, v11
	v_fmac_f32_e32 v111, 0x3f167918, v11
	;; [unrolled: 1-line block ×4, first 2 shown]
	v_add_f32_e32 v11, v44, v45
	v_fmac_f32_e32 v9, 0xbf167918, v21
	v_fmamk_f32 v73, v118, 0xbf737871, v20
	v_fmamk_f32 v72, v119, 0x3f737871, v42
	v_fmac_f32_e32 v42, 0xbf737871, v119
	v_fmac_f32_e32 v112, 0x3e9e377a, v11
	;; [unrolled: 1-line block ×3, first 2 shown]
	v_mov_b32_e32 v11, 0x604
	v_fmac_f32_e32 v20, 0x3f737871, v118
	v_cndmask_b32_e64 v21, 0, 0x604, s0
	v_fmac_f32_e32 v73, 0xbf167918, v119
	v_fmac_f32_e32 v72, 0xbf167918, v118
	;; [unrolled: 1-line block ×3, first 2 shown]
	v_mul_u32_u24_sdwa v11, v31, v11 dst_sel:DWORD dst_unused:UNUSED_PAD src0_sel:WORD_0 src1_sel:DWORD
	v_fmac_f32_e32 v20, 0x3f167918, v119
	ds_write2_b32 v33, v69, v41 offset1:77
	v_add3_u32 v21, 0, v21, v36
	ds_write2_b32 v33, v40, v18 offset0:154 offset1:231
	ds_write_b32 v33, v10 offset:1232
	v_lshl_add_u32 v10, v53, 2, 0
	v_fmac_f32_e32 v73, 0x3e9e377a, v114
	v_fmac_f32_e32 v72, 0x3e9e377a, v115
	;; [unrolled: 1-line block ×3, first 2 shown]
	v_add3_u32 v11, 0, v11, v58
	v_fmac_f32_e32 v20, 0x3e9e377a, v114
	ds_write2_b32 v21, v97, v100 offset1:77
	ds_write2_b32 v21, v104, v8 offset0:154 offset1:231
	ds_write_b32 v21, v65 offset:1232
	v_add_nc_u32_e32 v8, 0xc00, v10
	v_mul_u32_u24_e32 v18, 0x604, v52
	ds_write2_b32 v11, v86, v73 offset1:77
	ds_write2_b32 v11, v72, v42 offset0:154 offset1:231
	ds_write_b32 v11, v20 offset:1232
	ds_write2_b32 v8, v88, v95 offset0:2 offset1:79
	v_mul_u32_u24_e32 v20, 0x604, v54
	ds_write2_b32 v8, v92, v4 offset0:156 offset1:233
	v_add3_u32 v18, 0, v18, v57
	v_lshl_add_u32 v4, v55, 2, 0
	v_add_f32_e32 v19, v29, v51
	v_add3_u32 v20, 0, v20, v56
	ds_write_b32 v10, v61 offset:4312
	ds_write2_b32 v18, v93, v101 offset1:77
	ds_write2_b32 v18, v102, v5 offset0:154 offset1:231
	v_add_nc_u32_e32 v5, 0x1800, v4
	v_sub_f32_e32 v29, v43, v51
	v_add_f32_e32 v19, v19, v43
	ds_write_b32 v18, v106 offset:1232
	ds_write2_b32 v20, v48, v49 offset1:77
	ds_write2_b32 v20, v78, v6 offset0:154 offset1:231
	ds_write_b32 v20, v85 offset:1232
	ds_write2_b32 v5, v26, v30 offset0:4 offset1:81
	ds_write2_b32 v5, v27, v1 offset0:158 offset1:235
	ds_write_b32 v4, v28 offset:7392
	s_waitcnt lgkmcnt(0)
	s_barrier
	buffer_gl0_inv
	ds_read2_b32 v[40:41], v33 offset1:55
	ds_read2_b32 v[46:47], v60 offset0:74 offset1:129
	ds_read2_b32 v[44:45], v59 offset0:2 offset1:57
	;; [unrolled: 1-line block ×16, first 2 shown]
	ds_read_b32 v78, v33 offset:7480
	v_fma_f32 v15, -0.5, v130, v15
	v_add_f32_e32 v116, v131, v132
	v_add_f32_e32 v23, v23, v29
	;; [unrolled: 1-line block ×3, first 2 shown]
	s_waitcnt lgkmcnt(0)
	v_fmamk_f32 v75, v128, 0xbf737871, v15
	v_fmac_f32_e32 v15, 0x3f737871, v128
	v_fmac_f32_e32 v111, 0x3e9e377a, v23
	;; [unrolled: 1-line block ×3, first 2 shown]
	s_barrier
	v_fmac_f32_e32 v75, 0x3f167918, v127
	v_fmac_f32_e32 v15, 0xbf167918, v127
	buffer_gl0_inv
	v_fmac_f32_e32 v75, 0x3e9e377a, v116
	v_fmac_f32_e32 v15, 0x3e9e377a, v116
	ds_write2_b32 v33, v17, v24 offset1:77
	ds_write2_b32 v33, v25, v7 offset0:154 offset1:231
	ds_write_b32 v33, v2 offset:1232
	ds_write2_b32 v21, v82, v79 offset1:77
	ds_write2_b32 v21, v80, v12 offset0:154 offset1:231
	ds_write_b32 v21, v22 offset:1232
	;; [unrolled: 3-line block ×3, first 2 shown]
	ds_write2_b32 v8, v87, v94 offset0:2 offset1:79
	ds_write2_b32 v8, v99, v16 offset0:156 offset1:233
	ds_write_b32 v10, v96 offset:4312
	ds_write2_b32 v18, v83, v98 offset1:77
	ds_write2_b32 v18, v105, v13 offset0:154 offset1:231
	ds_write_b32 v18, v109 offset:1232
	ds_write2_b32 v20, v107, v84 offset1:77
	ds_write2_b32 v20, v103, v14 offset0:154 offset1:231
	ds_write_b32 v20, v108 offset:1232
	ds_write2_b32 v5, v19, v111 offset0:4 offset1:81
	ds_write2_b32 v5, v112, v9 offset0:158 offset1:235
	ds_write_b32 v4, v110 offset:7392
	s_waitcnt lgkmcnt(0)
	s_barrier
	buffer_gl0_inv
	s_and_saveexec_b32 s0, vcc_lo
	s_cbranch_execz .LBB0_21
; %bb.20:
	v_lshlrev_b32_e32 v36, 2, v76
	v_add_nc_u32_e32 v96, 0x800, v33
	v_add_nc_u32_e32 v79, 0x1000, v33
	;; [unrolled: 1-line block ×4, first 2 shown]
	v_lshlrev_b64 v[1:2], 3, v[36:37]
	v_lshlrev_b32_e32 v36, 2, v0
	v_add_nc_u32_e32 v94, 0xe00, v33
	v_add_nc_u32_e32 v98, 0x1a00, v33
	;; [unrolled: 1-line block ×4, first 2 shown]
	v_add_co_u32 v3, vcc_lo, s8, v1
	v_add_co_ci_u32_e32 v4, vcc_lo, s9, v2, vcc_lo
	v_add_nc_u32_e32 v99, 0x200, v33
	v_add_co_u32 v0, vcc_lo, 0x800, v3
	v_add_co_ci_u32_e32 v1, vcc_lo, 0, v4, vcc_lo
	v_add_co_u32 v2, vcc_lo, 0xbd0, v3
	v_add_co_ci_u32_e32 v3, vcc_lo, 0, v4, vcc_lo
	v_lshlrev_b64 v[4:5], 3, v[36:37]
	s_clause 0x1
	global_load_dwordx4 v[8:11], v[0:1], off offset:976
	global_load_dwordx4 v[12:15], v[2:3], off offset:16
	v_lshlrev_b32_e32 v36, 2, v77
	v_add_co_u32 v2, vcc_lo, s8, v4
	v_add_co_ci_u32_e32 v3, vcc_lo, s9, v5, vcc_lo
	v_lshlrev_b64 v[16:17], 3, v[36:37]
	v_add_co_u32 v0, vcc_lo, 0x800, v2
	v_add_co_ci_u32_e32 v1, vcc_lo, 0, v3, vcc_lo
	v_add_co_u32 v4, vcc_lo, 0xbd0, v2
	v_add_co_ci_u32_e32 v5, vcc_lo, 0, v3, vcc_lo
	v_add_co_u32 v18, vcc_lo, s8, v16
	v_lshlrev_b32_e32 v36, 2, v91
	v_add_co_ci_u32_e32 v19, vcc_lo, s9, v17, vcc_lo
	v_add_co_u32 v16, vcc_lo, 0x800, v18
	v_lshlrev_b64 v[24:25], 3, v[36:37]
	v_add_co_ci_u32_e32 v17, vcc_lo, 0, v19, vcc_lo
	v_add_co_u32 v20, vcc_lo, 0xbd0, v18
	s_clause 0x1
	global_load_dwordx4 v[0:3], v[0:1], off offset:976
	global_load_dwordx4 v[4:7], v[4:5], off offset:16
	v_add_co_ci_u32_e32 v21, vcc_lo, 0, v19, vcc_lo
	v_add_co_u32 v26, vcc_lo, s8, v24
	v_add_co_ci_u32_e32 v27, vcc_lo, s9, v25, vcc_lo
	s_clause 0x1
	global_load_dwordx4 v[16:19], v[16:17], off offset:976
	global_load_dwordx4 v[20:23], v[20:21], off offset:16
	v_add_co_u32 v24, vcc_lo, 0x800, v26
	v_add_co_ci_u32_e32 v25, vcc_lo, 0, v27, vcc_lo
	v_add_co_u32 v28, vcc_lo, 0xbd0, v26
	v_add_co_ci_u32_e32 v29, vcc_lo, 0, v27, vcc_lo
	s_clause 0x1
	global_load_dwordx4 v[24:27], v[24:25], off offset:976
	global_load_dwordx4 v[28:31], v[28:29], off offset:16
	v_lshlrev_b32_e32 v36, 2, v90
	ds_read_b32 v132, v33 offset:7480
	ds_read2_b32 v[74:75], v33 offset0:110 offset1:165
	ds_read2_b32 v[110:111], v96 offset0:148 offset1:203
	v_lshlrev_b64 v[83:84], 3, v[36:37]
	v_add_co_u32 v36, vcc_lo, s8, v83
	v_add_co_ci_u32_e32 v85, vcc_lo, s9, v84, vcc_lo
	v_add_co_u32 v87, vcc_lo, 0xbd0, v38
	v_add_co_ci_u32_e32 v88, vcc_lo, 0, v39, vcc_lo
	;; [unrolled: 2-line block ×4, first 2 shown]
	global_load_dwordx4 v[83:86], v[83:84], off offset:976
	v_lshlrev_b32_e32 v36, 2, v89
	v_add_co_u32 v38, vcc_lo, 0x800, v38
	global_load_dwordx4 v[90:93], v[90:91], off offset:16
	ds_read2_b32 v[112:113], v79 offset0:76 offset1:131
	ds_read2_b32 v[114:115], v97 offset0:150 offset1:205
	;; [unrolled: 1-line block ×4, first 2 shown]
	v_lshlrev_b64 v[94:95], 3, v[36:37]
	v_add_co_ci_u32_e32 v39, vcc_lo, 0, v39, vcc_lo
	ds_read2_b32 v[120:121], v98 offset0:96 offset1:151
	ds_read2_b32 v[122:123], v99 offset0:92 offset1:147
	;; [unrolled: 1-line block ×6, first 2 shown]
	v_add_co_u32 v36, vcc_lo, s8, v94
	v_add_co_ci_u32_e32 v89, vcc_lo, s9, v95, vcc_lo
	v_add_co_u32 v102, vcc_lo, 0x800, v36
	v_add_co_ci_u32_e32 v103, vcc_lo, 0, v89, vcc_lo
	;; [unrolled: 2-line block ×3, first 2 shown]
	s_clause 0x3
	global_load_dwordx4 v[94:97], v[38:39], off offset:976
	global_load_dwordx4 v[98:101], v[87:88], off offset:16
	global_load_dwordx4 v[102:105], v[102:103], off offset:976
	global_load_dwordx4 v[106:109], v[106:107], off offset:16
	s_waitcnt vmcnt(13)
	v_mul_f32_e32 v36, v73, v9
	v_mul_f32_e32 v38, v42, v11
	s_waitcnt vmcnt(12)
	v_mul_f32_e32 v39, v78, v15
	v_mul_f32_e32 v87, v71, v13
	s_waitcnt lgkmcnt(10)
	v_mul_f32_e32 v9, v111, v9
	v_mul_f32_e32 v15, v132, v15
	s_waitcnt lgkmcnt(9)
	v_mul_f32_e32 v11, v112, v11
	s_waitcnt lgkmcnt(8)
	v_mul_f32_e32 v13, v115, v13
	v_fma_f32 v36, v8, v111, -v36
	v_fma_f32 v38, v10, v112, -v38
	;; [unrolled: 1-line block ×4, first 2 shown]
	v_fmac_f32_e32 v9, v73, v8
	v_fmac_f32_e32 v15, v78, v14
	;; [unrolled: 1-line block ×4, first 2 shown]
	v_sub_f32_e32 v115, v36, v39
	v_sub_f32_e32 v133, v38, v36
	;; [unrolled: 1-line block ×5, first 2 shown]
	v_add_f32_e32 v112, v11, v13
	v_add_f32_e32 v135, v36, v39
	v_sub_f32_e32 v136, v11, v9
	v_sub_f32_e32 v137, v13, v15
	v_add_f32_e32 v138, v9, v15
	v_sub_f32_e32 v89, v11, v13
	v_sub_f32_e32 v132, v38, v87
	s_waitcnt vmcnt(11)
	v_mul_f32_e32 v8, v72, v1
	v_mul_f32_e32 v10, v67, v3
	s_waitcnt vmcnt(10)
	v_mul_f32_e32 v12, v69, v7
	v_mul_f32_e32 v14, v70, v5
	;; [unrolled: 1-line block ×3, first 2 shown]
	s_waitcnt lgkmcnt(5)
	v_mul_f32_e32 v71, v121, v7
	v_mul_f32_e32 v73, v119, v3
	;; [unrolled: 1-line block ×3, first 2 shown]
	v_sub_f32_e32 v1, v36, v38
	v_sub_f32_e32 v3, v39, v87
	;; [unrolled: 1-line block ×3, first 2 shown]
	v_add_f32_e32 v36, v36, v116
	v_add_f32_e32 v9, v46, v9
	v_fma_f32 v8, v0, v110, -v8
	v_fma_f32 v110, v2, v119, -v10
	;; [unrolled: 1-line block ×4, first 2 shown]
	v_fmac_f32_e32 v42, v72, v0
	v_fmac_f32_e32 v71, v69, v6
	;; [unrolled: 1-line block ×4, first 2 shown]
	s_waitcnt vmcnt(8)
	v_mul_f32_e32 v10, v68, v23
	v_mul_f32_e32 v67, v120, v23
	;; [unrolled: 1-line block ×3, first 2 shown]
	s_waitcnt lgkmcnt(2)
	v_mul_f32_e32 v69, v127, v21
	v_add_f32_e32 v5, v38, v87
	v_mul_f32_e32 v4, v63, v17
	v_mul_f32_e32 v6, v66, v19
	;; [unrolled: 1-line block ×4, first 2 shown]
	v_add_f32_e32 v70, v1, v3
	v_add_f32_e32 v72, v7, v111
	v_fma_f32 v0, -0.5, v112, v46
	v_add_f32_e32 v111, v133, v134
	v_fma_f32 v3, -0.5, v135, v116
	;; [unrolled: 2-line block ×3, first 2 shown]
	v_add_f32_e32 v17, v38, v36
	v_add_f32_e32 v9, v9, v11
	v_sub_f32_e32 v11, v8, v110
	v_sub_f32_e32 v19, v119, v114
	v_add_f32_e32 v21, v110, v114
	v_sub_f32_e32 v36, v42, v71
	v_sub_f32_e32 v46, v42, v73
	;; [unrolled: 3-line block ×3, first 2 shown]
	v_add_f32_e32 v137, v8, v119
	v_sub_f32_e32 v138, v73, v42
	v_add_f32_e32 v140, v42, v71
	v_add_f32_e32 v8, v8, v123
	;; [unrolled: 1-line block ×3, first 2 shown]
	v_fmac_f32_e32 v23, v66, v18
	v_fmac_f32_e32 v69, v65, v20
	v_fma_f32 v1, -0.5, v5, v116
	v_sub_f32_e32 v116, v71, v78
	v_sub_f32_e32 v136, v114, v119
	;; [unrolled: 1-line block ×3, first 2 shown]
	v_fma_f32 v125, v16, v125, -v4
	v_fma_f32 v118, v18, v118, -v6
	v_fma_f32 v120, v22, v120, -v10
	v_fma_f32 v127, v20, v127, -v12
	v_fmac_f32_e32 v14, v63, v16
	v_fmac_f32_e32 v67, v68, v22
	s_waitcnt vmcnt(7)
	v_mul_f32_e32 v16, v59, v27
	v_mul_f32_e32 v18, v62, v25
	s_waitcnt vmcnt(6)
	v_mul_f32_e32 v20, v64, v29
	v_mul_f32_e32 v22, v57, v31
	s_waitcnt lgkmcnt(1)
	v_mul_f32_e32 v63, v129, v27
	v_mul_f32_e32 v68, v126, v29
	v_mul_f32_e32 v65, v124, v25
	s_waitcnt lgkmcnt(0)
	v_mul_f32_e32 v141, v131, v31
	v_add_f32_e32 v66, v11, v19
	v_fma_f32 v11, -0.5, v21, v123
	v_fma_f32 v10, -0.5, v121, v61
	v_add_f32_e32 v19, v110, v8
	v_add_f32_e32 v21, v42, v73
	;; [unrolled: 1-line block ×3, first 2 shown]
	v_sub_f32_e32 v38, v73, v78
	v_fmamk_f32 v4, v115, 0x3f737871, v0
	v_add_f32_e32 v17, v87, v17
	v_add_f32_e32 v25, v9, v13
	v_fmac_f32_e32 v0, 0xbf737871, v115
	v_add_f32_e32 v46, v46, v116
	v_add_f32_e32 v87, v135, v136
	v_fma_f32 v13, -0.5, v137, v123
	v_add_f32_e32 v116, v138, v139
	v_sub_f32_e32 v27, v125, v118
	v_sub_f32_e32 v29, v120, v127
	v_add_f32_e32 v31, v118, v127
	v_sub_f32_e32 v123, v125, v120
	v_sub_f32_e32 v136, v118, v125
	v_add_f32_e32 v138, v125, v120
	v_add_f32_e32 v125, v125, v122
	v_add_f32_e32 v143, v60, v14
	v_fma_f32 v129, v26, v129, -v16
	v_fma_f32 v124, v24, v124, -v18
	;; [unrolled: 1-line block ×4, first 2 shown]
	v_fmac_f32_e32 v63, v59, v26
	v_fmac_f32_e32 v68, v64, v28
	;; [unrolled: 1-line block ×4, first 2 shown]
	v_add_f32_e32 v22, v114, v19
	v_add_f32_e32 v24, v21, v78
	v_fma_f32 v18, -0.5, v121, v60
	v_sub_f32_e32 v134, v110, v114
	v_fmamk_f32 v6, v132, 0xbf737871, v2
	v_fmac_f32_e32 v2, 0x3f737871, v132
	v_fma_f32 v12, -0.5, v140, v61
	v_sub_f32_e32 v61, v23, v69
	v_sub_f32_e32 v73, v14, v23
	;; [unrolled: 1-line block ×5, first 2 shown]
	v_fmac_f32_e32 v4, 0x3f167918, v132
	v_add_f32_e32 v9, v39, v17
	v_add_f32_e32 v8, v15, v25
	v_fmac_f32_e32 v0, 0xbf167918, v132
	v_fmamk_f32 v15, v36, 0xbf737871, v11
	v_fmamk_f32 v17, v38, 0x3f737871, v13
	v_fmac_f32_e32 v13, 0xbf737871, v38
	v_fmac_f32_e32 v11, 0x3f737871, v36
	v_add_f32_e32 v57, v27, v29
	v_fma_f32 v19, -0.5, v31, v122
	v_add_f32_e32 v28, v118, v125
	v_add_f32_e32 v29, v143, v23
	v_sub_f32_e32 v30, v129, v124
	v_sub_f32_e32 v31, v126, v131
	v_add_f32_e32 v62, v65, v141
	v_add_f32_e32 v132, v63, v68
	;; [unrolled: 1-line block ×4, first 2 shown]
	v_fmamk_f32 v24, v123, 0x3f737871, v18
	v_fmac_f32_e32 v18, 0xbf737871, v123
	v_fmamk_f32 v5, v88, 0xbf737871, v1
	v_fmamk_f32 v7, v89, 0x3f737871, v3
	v_fmac_f32_e32 v3, 0xbf737871, v89
	v_fmac_f32_e32 v1, 0x3f737871, v88
	v_sub_f32_e32 v42, v14, v67
	v_sub_f32_e32 v140, v69, v67
	v_add_f32_e32 v142, v14, v67
	v_fmamk_f32 v14, v133, 0x3f737871, v10
	v_fmac_f32_e32 v10, 0xbf737871, v133
	v_add_f32_e32 v64, v73, v110
	v_add_f32_e32 v121, v129, v126
	v_fmac_f32_e32 v15, 0xbf167918, v38
	v_fmac_f32_e32 v17, 0xbf167918, v36
	;; [unrolled: 1-line block ×4, first 2 shown]
	v_add_f32_e32 v36, v127, v28
	v_add_f32_e32 v38, v29, v69
	;; [unrolled: 1-line block ×3, first 2 shown]
	v_fma_f32 v28, -0.5, v62, v55
	v_fma_f32 v30, -0.5, v132, v55
	v_fmac_f32_e32 v24, 0x3f167918, v135
	v_fmac_f32_e32 v18, 0xbf167918, v135
	v_add_f32_e32 v55, v55, v65
	v_fmac_f32_e32 v5, 0xbf167918, v89
	v_fmac_f32_e32 v7, 0xbf167918, v88
	v_fmac_f32_e32 v3, 0x3f167918, v88
	v_fmac_f32_e32 v1, 0x3f167918, v89
	v_fma_f32 v21, -0.5, v138, v122
	v_sub_f32_e32 v88, v63, v68
	v_sub_f32_e32 v89, v65, v141
	v_sub_f32_e32 v59, v63, v65
	v_sub_f32_e32 v122, v65, v63
	v_fmac_f32_e32 v14, 0x3f167918, v134
	v_fmac_f32_e32 v10, 0xbf167918, v134
	v_fma_f32 v31, -0.5, v121, v75
	v_fmac_f32_e32 v15, 0x3e9e377a, v66
	v_fmac_f32_e32 v11, 0x3e9e377a, v66
	;; [unrolled: 1-line block ×4, first 2 shown]
	v_add_f32_e32 v55, v63, v55
	ds_read2_b32 v[63:64], v82 offset0:184 offset1:239
	ds_read2_b32 v[65:66], v79 offset0:186 offset1:241
	v_fmac_f32_e32 v6, 0x3f167918, v115
	v_fmac_f32_e32 v2, 0xbf167918, v115
	v_add_f32_e32 v39, v124, v131
	v_sub_f32_e32 v115, v124, v129
	v_sub_f32_e32 v118, v131, v126
	v_fmamk_f32 v25, v42, 0xbf737871, v19
	v_fmac_f32_e32 v19, 0x3f737871, v42
	v_fmac_f32_e32 v14, 0x3e9e377a, v46
	;; [unrolled: 1-line block ×3, first 2 shown]
	v_fmamk_f32 v62, v89, 0x3f737871, v31
	v_add_f32_e32 v46, v124, v75
	v_fmac_f32_e32 v31, 0xbf737871, v89
	v_fma_f32 v29, -0.5, v39, v75
	v_fmac_f32_e32 v25, 0xbf167918, v61
	v_fmac_f32_e32 v19, 0x3f167918, v61
	v_add_f32_e32 v39, v120, v36
	v_add_f32_e32 v36, v115, v118
	v_fmac_f32_e32 v62, 0x3f167918, v88
	v_add_f32_e32 v46, v129, v46
	v_fmac_f32_e32 v31, 0xbf167918, v88
	v_fma_f32 v20, -0.5, v142, v60
	v_sub_f32_e32 v60, v68, v141
	v_sub_f32_e32 v114, v129, v126
	v_fmac_f32_e32 v25, 0x3e9e377a, v57
	v_fmac_f32_e32 v19, 0x3e9e377a, v57
	;; [unrolled: 1-line block ×3, first 2 shown]
	v_add_f32_e32 v46, v126, v46
	v_add_f32_e32 v55, v55, v68
	v_fmac_f32_e32 v31, 0x3e9e377a, v36
	s_waitcnt vmcnt(5)
	v_mul_f32_e32 v36, v53, v84
	s_waitcnt vmcnt(4)
	v_mul_f32_e32 v57, v51, v91
	v_sub_f32_e32 v110, v124, v131
	v_sub_f32_e32 v125, v141, v68
	v_fmac_f32_e32 v5, 0x3e9e377a, v70
	v_fmac_f32_e32 v1, 0x3e9e377a, v70
	v_add_f32_e32 v70, v59, v60
	v_add_f32_e32 v38, v67, v38
	v_fmamk_f32 v60, v88, 0x3f737871, v29
	v_fmamk_f32 v59, v114, 0xbf737871, v28
	v_fmac_f32_e32 v29, 0xbf737871, v88
	v_fmac_f32_e32 v28, 0x3f737871, v114
	v_add_f32_e32 v68, v131, v46
	v_add_f32_e32 v67, v55, v141
	v_mul_f32_e32 v46, v58, v86
	v_mul_f32_e32 v55, v56, v93
	s_waitcnt lgkmcnt(1)
	v_fma_f32 v36, v83, v64, -v36
	s_waitcnt lgkmcnt(0)
	v_fma_f32 v82, v90, v66, -v57
	v_mul_f32_e32 v86, v128, v86
	v_mul_f32_e32 v66, v66, v91
	;; [unrolled: 1-line block ×4, first 2 shown]
	v_fmamk_f32 v27, v61, 0x3f737871, v21
	v_fmac_f32_e32 v21, 0xbf737871, v61
	v_fmac_f32_e32 v60, 0xbf167918, v89
	v_fmamk_f32 v61, v110, 0xbf737871, v30
	v_fmac_f32_e32 v59, 0x3f167918, v110
	v_fmac_f32_e32 v29, 0x3f167918, v89
	v_fmac_f32_e32 v28, 0xbf167918, v110
	v_fmac_f32_e32 v30, 0x3f737871, v110
	v_fma_f32 v46, v85, v128, -v46
	v_fma_f32 v75, v92, v130, -v55
	v_fmac_f32_e32 v86, v58, v85
	v_fmac_f32_e32 v66, v51, v90
	v_fmac_f32_e32 v64, v53, v83
	v_fmac_f32_e32 v84, v56, v92
	v_sub_f32_e32 v137, v127, v120
	v_fmamk_f32 v26, v135, 0xbf737871, v20
	v_fmac_f32_e32 v20, 0x3f737871, v135
	v_fmac_f32_e32 v27, 0xbf167918, v42
	;; [unrolled: 1-line block ×4, first 2 shown]
	v_add_f32_e32 v42, v122, v125
	v_fmac_f32_e32 v61, 0xbf167918, v114
	v_fmac_f32_e32 v59, 0x3e9e377a, v70
	;; [unrolled: 1-line block ×5, first 2 shown]
	v_sub_f32_e32 v51, v36, v46
	v_sub_f32_e32 v53, v75, v82
	;; [unrolled: 1-line block ×4, first 2 shown]
	v_add_f32_e32 v71, v36, v75
	v_add_f32_e32 v73, v136, v137
	;; [unrolled: 1-line block ×3, first 2 shown]
	v_fmac_f32_e32 v4, 0x3e9e377a, v72
	v_fmac_f32_e32 v0, 0x3e9e377a, v72
	v_fmac_f32_e32 v26, 0x3f167918, v123
	v_fmac_f32_e32 v20, 0xbf167918, v123
	v_fmac_f32_e32 v61, 0x3e9e377a, v42
	v_fmac_f32_e32 v30, 0x3e9e377a, v42
	v_add_f32_e32 v42, v51, v53
	v_sub_f32_e32 v53, v86, v66
	v_add_f32_e32 v72, v64, v84
	v_add_f32_e32 v85, v69, v70
	v_fma_f32 v70, -0.5, v71, v74
	v_fmac_f32_e32 v27, 0x3e9e377a, v73
	v_fmac_f32_e32 v26, 0x3e9e377a, v78
	;; [unrolled: 1-line block ×4, first 2 shown]
	v_sub_f32_e32 v73, v64, v84
	v_sub_f32_e32 v78, v46, v36
	v_fma_f32 v69, -0.5, v72, v54
	v_sub_f32_e32 v79, v82, v75
	v_fmamk_f32 v72, v53, 0x3f737871, v70
	v_fmac_f32_e32 v70, 0xbf737871, v53
	v_add_f32_e32 v55, v46, v82
	v_add_f32_e32 v57, v86, v66
	;; [unrolled: 1-line block ×3, first 2 shown]
	v_fmac_f32_e32 v72, 0xbf167918, v73
	v_fmac_f32_e32 v70, 0x3f167918, v73
	v_fma_f32 v56, -0.5, v55, v74
	v_sub_f32_e32 v51, v36, v75
	v_sub_f32_e32 v83, v46, v82
	v_fmac_f32_e32 v72, 0x3e9e377a, v78
	v_fmac_f32_e32 v70, 0x3e9e377a, v78
	ds_read2_b32 v[78:79], v81 offset0:2 offset1:57
	v_fmamk_f32 v58, v73, 0xbf737871, v56
	v_fmac_f32_e32 v56, 0x3f737871, v73
	v_add_f32_e32 v36, v36, v74
	ds_read2_b32 v[73:74], v80 offset0:4 offset1:59
	v_fma_f32 v55, -0.5, v57, v54
	v_fmac_f32_e32 v58, 0xbf167918, v53
	v_fmamk_f32 v71, v83, 0xbf737871, v69
	v_fmac_f32_e32 v69, 0x3f737871, v83
	v_fmac_f32_e32 v56, 0x3f167918, v53
	v_add_f32_e32 v36, v46, v36
	v_add_f32_e32 v46, v54, v64
	ds_read2_b32 v[53:54], v33 offset1:55
	v_fmamk_f32 v57, v51, 0x3f737871, v55
	v_fmac_f32_e32 v71, 0x3f167918, v51
	v_fmac_f32_e32 v58, 0x3e9e377a, v42
	;; [unrolled: 1-line block ×5, first 2 shown]
	v_add_f32_e32 v36, v82, v36
	v_add_f32_e32 v42, v46, v86
	s_waitcnt vmcnt(1)
	v_mul_f32_e32 v33, v45, v105
	s_waitcnt vmcnt(0)
	v_mul_f32_e32 v51, v50, v107
	v_fmac_f32_e32 v17, 0x3e9e377a, v87
	v_fmac_f32_e32 v13, 0x3e9e377a, v87
	v_sub_f32_e32 v87, v86, v64
	v_mul_f32_e32 v64, v52, v103
	v_add_f32_e32 v46, v75, v36
	v_add_f32_e32 v36, v42, v66
	s_waitcnt lgkmcnt(2)
	v_fma_f32 v33, v104, v79, -v33
	v_fma_f32 v42, v106, v65, -v51
	v_mul_f32_e32 v51, v49, v109
	v_mul_f32_e32 v79, v79, v105
	;; [unrolled: 1-line block ×3, first 2 shown]
	v_fma_f32 v75, v102, v63, -v64
	v_mul_f32_e32 v80, v63, v103
	s_waitcnt lgkmcnt(1)
	v_mul_f32_e32 v81, v74, v109
	v_add_f32_e32 v63, v33, v42
	v_fma_f32 v74, v108, v74, -v51
	v_fmac_f32_e32 v79, v45, v104
	v_fmac_f32_e32 v82, v50, v106
	v_fmac_f32_e32 v80, v52, v102
	v_fmac_f32_e32 v81, v49, v108
	s_waitcnt lgkmcnt(0)
	v_fma_f32 v50, -0.5, v63, v54
	v_sub_f32_e32 v49, v75, v33
	v_sub_f32_e32 v51, v74, v42
	v_add_f32_e32 v63, v79, v82
	v_sub_f32_e32 v88, v66, v84
	v_add_f32_e32 v45, v84, v36
	v_sub_f32_e32 v65, v81, v82
	v_add_f32_e32 v84, v49, v51
	v_fma_f32 v49, -0.5, v63, v41
	v_sub_f32_e32 v63, v80, v79
	v_add_f32_e32 v51, v75, v74
	v_add_f32_e32 v87, v87, v88
	v_fmac_f32_e32 v57, 0x3f167918, v83
	v_fmac_f32_e32 v55, 0xbf167918, v83
	v_add_f32_e32 v89, v63, v65
	v_add_f32_e32 v63, v80, v81
	v_fma_f32 v64, -0.5, v51, v54
	v_add_f32_e32 v54, v75, v54
	v_fmac_f32_e32 v71, 0x3e9e377a, v87
	v_fmac_f32_e32 v69, 0x3e9e377a, v87
	v_fma_f32 v63, -0.5, v63, v41
	v_add_f32_e32 v41, v41, v80
	v_sub_f32_e32 v83, v80, v81
	v_sub_f32_e32 v86, v33, v42
	;; [unrolled: 1-line block ×3, first 2 shown]
	v_add_f32_e32 v33, v33, v54
	v_add_f32_e32 v41, v41, v79
	v_fmamk_f32 v52, v83, 0xbf737871, v50
	v_sub_f32_e32 v36, v79, v82
	v_sub_f32_e32 v88, v42, v74
	v_add_f32_e32 v33, v42, v33
	v_add_f32_e32 v41, v41, v82
	v_fmac_f32_e32 v50, 0x3f737871, v83
	v_fmac_f32_e32 v57, 0x3e9e377a, v85
	;; [unrolled: 1-line block ×3, first 2 shown]
	v_sub_f32_e32 v85, v75, v74
	v_fmac_f32_e32 v52, 0xbf167918, v36
	v_fmamk_f32 v66, v36, 0x3f737871, v64
	v_add_f32_e32 v87, v87, v88
	v_sub_f32_e32 v88, v82, v81
	v_fmac_f32_e32 v64, 0xbf737871, v36
	v_add_f32_e32 v42, v74, v33
	v_add_f32_e32 v41, v81, v41
	v_mul_f32_e32 v33, v44, v97
	v_mul_f32_e32 v54, v43, v99
	v_fmac_f32_e32 v50, 0x3f167918, v36
	v_mul_f32_e32 v36, v47, v95
	v_mul_f32_e32 v74, v48, v101
	;; [unrolled: 1-line block ×4, first 2 shown]
	v_fmac_f32_e32 v66, 0xbf167918, v83
	v_fmac_f32_e32 v64, 0x3f167918, v83
	v_fma_f32 v33, v96, v78, -v33
	v_fma_f32 v54, v98, v113, -v54
	v_mul_f32_e32 v75, v117, v95
	v_fma_f32 v36, v94, v117, -v36
	v_fma_f32 v83, v100, v73, -v74
	v_fmac_f32_e32 v81, v44, v96
	v_fmac_f32_e32 v82, v43, v98
	v_fmamk_f32 v51, v85, 0x3f737871, v49
	v_sub_f32_e32 v65, v79, v80
	v_fmac_f32_e32 v49, 0xbf737871, v85
	v_mul_f32_e32 v80, v73, v101
	v_fmac_f32_e32 v75, v47, v94
	v_sub_f32_e32 v43, v36, v33
	v_sub_f32_e32 v47, v83, v54
	v_add_f32_e32 v73, v81, v82
	v_fmac_f32_e32 v51, 0x3f167918, v86
	v_fmac_f32_e32 v52, 0x3e9e377a, v84
	;; [unrolled: 1-line block ×3, first 2 shown]
	v_add_f32_e32 v88, v65, v88
	v_fmamk_f32 v65, v86, 0xbf737871, v63
	v_fmac_f32_e32 v63, 0x3f737871, v86
	v_fmac_f32_e32 v64, 0x3e9e377a, v87
	v_fmac_f32_e32 v80, v48, v100
	v_fmac_f32_e32 v49, 0xbf167918, v86
	v_fmac_f32_e32 v50, 0x3e9e377a, v84
	v_add_f32_e32 v84, v43, v47
	v_fma_f32 v47, -0.5, v73, v40
	v_sub_f32_e32 v87, v36, v83
	v_add_f32_e32 v73, v36, v83
	v_sub_f32_e32 v90, v33, v36
	v_add_f32_e32 v36, v36, v53
	v_add_f32_e32 v79, v33, v54
	v_fmac_f32_e32 v51, 0x3e9e377a, v89
	v_fmac_f32_e32 v65, 0x3f167918, v85
	;; [unrolled: 1-line block ×4, first 2 shown]
	v_sub_f32_e32 v43, v75, v81
	v_sub_f32_e32 v74, v80, v82
	v_add_f32_e32 v78, v75, v80
	v_sub_f32_e32 v89, v33, v54
	v_add_f32_e32 v33, v33, v36
	v_fma_f32 v48, -0.5, v79, v53
	v_sub_f32_e32 v85, v75, v80
	v_fmac_f32_e32 v65, 0x3e9e377a, v88
	v_fmac_f32_e32 v63, 0x3e9e377a, v88
	v_add_f32_e32 v88, v43, v74
	v_fma_f32 v74, -0.5, v73, v53
	v_fma_f32 v73, -0.5, v78, v40
	v_add_f32_e32 v36, v54, v33
	v_add_f32_e32 v40, v40, v75
	v_mov_b32_e32 v33, v37
	v_fmamk_f32 v44, v85, 0xbf737871, v48
	v_sub_f32_e32 v86, v81, v82
	v_fmac_f32_e32 v48, 0x3f737871, v85
	v_add_f32_e32 v40, v40, v81
	v_lshlrev_b64 v[32:33], 3, v[32:33]
	v_sub_f32_e32 v92, v81, v75
	v_add_co_u32 v75, vcc_lo, s2, v34
	v_fmac_f32_e32 v44, 0xbf167918, v86
	v_fmamk_f32 v79, v86, 0x3f737871, v74
	v_fmac_f32_e32 v74, 0xbf737871, v86
	v_fmac_f32_e32 v48, 0x3f167918, v86
	v_add_co_ci_u32_e32 v86, vcc_lo, s3, v35, vcc_lo
	v_add_f32_e32 v34, v40, v82
	v_add_co_u32 v32, vcc_lo, v75, v32
	v_add_co_ci_u32_e32 v33, vcc_lo, v86, v33, vcc_lo
	v_fmamk_f32 v43, v87, 0x3f737871, v47
	v_fmac_f32_e32 v47, 0xbf737871, v87
	v_sub_f32_e32 v91, v54, v83
	v_sub_f32_e32 v93, v82, v80
	v_fmamk_f32 v78, v89, 0xbf737871, v73
	v_fmac_f32_e32 v73, 0x3f737871, v89
	v_add_f32_e32 v35, v80, v34
	v_mul_hi_u32 v34, 0x551c979b, v77
	v_add_co_u32 v53, vcc_lo, 0x800, v32
	v_add_co_ci_u32_e32 v54, vcc_lo, 0, v33, vcc_lo
	v_fmac_f32_e32 v47, 0xbf167918, v89
	v_add_co_u32 v80, vcc_lo, 0x1800, v32
	v_add_f32_e32 v90, v90, v91
	v_add_f32_e32 v91, v92, v93
	v_fmac_f32_e32 v74, 0x3f167918, v85
	v_fmac_f32_e32 v73, 0xbf167918, v87
	;; [unrolled: 1-line block ×4, first 2 shown]
	v_add_co_ci_u32_e32 v81, vcc_lo, 0, v33, vcc_lo
	v_fmac_f32_e32 v43, 0x3f167918, v89
	v_add_co_u32 v82, vcc_lo, 0x2000, v32
	v_add_f32_e32 v36, v83, v36
	v_lshrrev_b32_e32 v34, 7, v34
	v_fmac_f32_e32 v48, 0x3e9e377a, v84
	v_fmac_f32_e32 v47, 0x3e9e377a, v88
	v_add_co_ci_u32_e32 v83, vcc_lo, 0, v33, vcc_lo
	v_fmac_f32_e32 v44, 0x3e9e377a, v84
	v_fmac_f32_e32 v74, 0x3e9e377a, v90
	;; [unrolled: 1-line block ×3, first 2 shown]
	v_add_co_u32 v84, vcc_lo, 0x3000, v32
	v_fmac_f32_e32 v79, 0x3e9e377a, v90
	v_fmac_f32_e32 v78, 0x3e9e377a, v91
	;; [unrolled: 1-line block ×3, first 2 shown]
	v_add_co_ci_u32_e32 v85, vcc_lo, 0, v33, vcc_lo
	global_store_dwordx2 v[32:33], v[35:36], off
	global_store_dwordx2 v[53:54], v[47:48], off offset:1032
	global_store_dwordx2 v[80:81], v[73:74], off offset:16
	;; [unrolled: 1-line block ×4, first 2 shown]
	v_mul_u32_u24_e32 v36, 0x604, v34
	global_store_dwordx2 v[32:33], v[41:42], off offset:440
	global_store_dwordx2 v[53:54], v[49:50], off offset:1472
	;; [unrolled: 1-line block ×7, first 2 shown]
	v_add_co_u32 v34, vcc_lo, 0x1000, v32
	v_add_co_ci_u32_e32 v35, vcc_lo, 0, v33, vcc_lo
	v_lshlrev_b64 v[40:41], 3, v[36:37]
	v_add_co_u32 v42, vcc_lo, 0x2800, v32
	v_add_co_ci_u32_e32 v43, vcc_lo, 0, v33, vcc_lo
	v_mul_hi_u32 v36, 0x551c979b, v76
	v_add_co_u32 v40, vcc_lo, v32, v40
	v_add_co_ci_u32_e32 v41, vcc_lo, v33, v41, vcc_lo
	v_fmamk_f32 v16, v134, 0xbf737871, v12
	v_fmac_f32_e32 v12, 0x3f737871, v134
	global_store_dwordx2 v[80:81], v[69:70], off offset:896
	global_store_dwordx2 v[82:83], v[71:72], off offset:1928
	;; [unrolled: 1-line block ×9, first 2 shown]
	v_add_co_u32 v28, vcc_lo, 0x1000, v40
	v_add_co_ci_u32_e32 v29, vcc_lo, 0, v41, vcc_lo
	v_add_co_u32 v30, vcc_lo, 0x1800, v40
	v_lshrrev_b32_e32 v36, 7, v36
	v_fmac_f32_e32 v12, 0xbf167918, v133
	v_add_co_ci_u32_e32 v31, vcc_lo, 0, v41, vcc_lo
	v_fmac_f32_e32 v16, 0x3f167918, v133
	v_add_co_u32 v38, vcc_lo, 0x2800, v40
	v_add_co_ci_u32_e32 v39, vcc_lo, 0, v41, vcc_lo
	v_mad_u32_u24 v36, 0x604, v36, v76
	v_add_co_u32 v40, vcc_lo, 0x3000, v40
	v_fmac_f32_e32 v12, 0x3e9e377a, v116
	v_fmac_f32_e32 v16, 0x3e9e377a, v116
	v_add_co_ci_u32_e32 v41, vcc_lo, 0, v41, vcc_lo
	global_store_dwordx2 v[28:29], v[18:19], off offset:744
	global_store_dwordx2 v[30:31], v[20:21], off offset:1776
	;; [unrolled: 1-line block ×8, first 2 shown]
	v_lshlrev_b64 v[10:11], 3, v[36:37]
	v_add_co_u32 v12, vcc_lo, 0x3800, v32
	v_add_co_ci_u32_e32 v13, vcc_lo, 0, v33, vcc_lo
	v_fmac_f32_e32 v3, 0x3e9e377a, v111
	v_add_co_u32 v10, vcc_lo, v75, v10
	v_add_co_ci_u32_e32 v11, vcc_lo, v86, v11, vcc_lo
	global_store_dwordx2 v[12:13], v[14:15], off offset:184
	v_add_co_u32 v12, vcc_lo, 0x800, v10
	v_add_co_ci_u32_e32 v13, vcc_lo, 0, v11, vcc_lo
	v_add_co_u32 v14, vcc_lo, 0x1800, v10
	v_add_co_ci_u32_e32 v15, vcc_lo, 0, v11, vcc_lo
	;; [unrolled: 2-line block ×3, first 2 shown]
	v_fmac_f32_e32 v2, 0x3e9e377a, v112
	v_add_co_u32 v18, vcc_lo, 0x3000, v10
	v_fmac_f32_e32 v7, 0x3e9e377a, v111
	v_fmac_f32_e32 v6, 0x3e9e377a, v112
	v_add_co_ci_u32_e32 v19, vcc_lo, 0, v11, vcc_lo
	global_store_dwordx2 v[10:11], v[8:9], off
	global_store_dwordx2 v[12:13], v[0:1], off offset:1032
	global_store_dwordx2 v[14:15], v[2:3], off offset:16
	;; [unrolled: 1-line block ×4, first 2 shown]
.LBB0_21:
	s_endpgm
	.section	.rodata,"a",@progbits
	.p2align	6, 0x0
	.amdhsa_kernel fft_rtc_back_len1925_factors_7_11_5_5_wgs_55_tpt_55_halfLds_sp_ip_CI_unitstride_sbrr_dirReg
		.amdhsa_group_segment_fixed_size 0
		.amdhsa_private_segment_fixed_size 0
		.amdhsa_kernarg_size 88
		.amdhsa_user_sgpr_count 6
		.amdhsa_user_sgpr_private_segment_buffer 1
		.amdhsa_user_sgpr_dispatch_ptr 0
		.amdhsa_user_sgpr_queue_ptr 0
		.amdhsa_user_sgpr_kernarg_segment_ptr 1
		.amdhsa_user_sgpr_dispatch_id 0
		.amdhsa_user_sgpr_flat_scratch_init 0
		.amdhsa_user_sgpr_private_segment_size 0
		.amdhsa_wavefront_size32 1
		.amdhsa_uses_dynamic_stack 0
		.amdhsa_system_sgpr_private_segment_wavefront_offset 0
		.amdhsa_system_sgpr_workgroup_id_x 1
		.amdhsa_system_sgpr_workgroup_id_y 0
		.amdhsa_system_sgpr_workgroup_id_z 0
		.amdhsa_system_sgpr_workgroup_info 0
		.amdhsa_system_vgpr_workitem_id 0
		.amdhsa_next_free_vgpr 197
		.amdhsa_next_free_sgpr 21
		.amdhsa_reserve_vcc 1
		.amdhsa_reserve_flat_scratch 0
		.amdhsa_float_round_mode_32 0
		.amdhsa_float_round_mode_16_64 0
		.amdhsa_float_denorm_mode_32 3
		.amdhsa_float_denorm_mode_16_64 3
		.amdhsa_dx10_clamp 1
		.amdhsa_ieee_mode 1
		.amdhsa_fp16_overflow 0
		.amdhsa_workgroup_processor_mode 1
		.amdhsa_memory_ordered 1
		.amdhsa_forward_progress 0
		.amdhsa_shared_vgpr_count 0
		.amdhsa_exception_fp_ieee_invalid_op 0
		.amdhsa_exception_fp_denorm_src 0
		.amdhsa_exception_fp_ieee_div_zero 0
		.amdhsa_exception_fp_ieee_overflow 0
		.amdhsa_exception_fp_ieee_underflow 0
		.amdhsa_exception_fp_ieee_inexact 0
		.amdhsa_exception_int_div_zero 0
	.end_amdhsa_kernel
	.text
.Lfunc_end0:
	.size	fft_rtc_back_len1925_factors_7_11_5_5_wgs_55_tpt_55_halfLds_sp_ip_CI_unitstride_sbrr_dirReg, .Lfunc_end0-fft_rtc_back_len1925_factors_7_11_5_5_wgs_55_tpt_55_halfLds_sp_ip_CI_unitstride_sbrr_dirReg
                                        ; -- End function
	.section	.AMDGPU.csdata,"",@progbits
; Kernel info:
; codeLenInByte = 23340
; NumSgprs: 23
; NumVgprs: 197
; ScratchSize: 0
; MemoryBound: 0
; FloatMode: 240
; IeeeMode: 1
; LDSByteSize: 0 bytes/workgroup (compile time only)
; SGPRBlocks: 2
; VGPRBlocks: 24
; NumSGPRsForWavesPerEU: 23
; NumVGPRsForWavesPerEU: 197
; Occupancy: 4
; WaveLimiterHint : 1
; COMPUTE_PGM_RSRC2:SCRATCH_EN: 0
; COMPUTE_PGM_RSRC2:USER_SGPR: 6
; COMPUTE_PGM_RSRC2:TRAP_HANDLER: 0
; COMPUTE_PGM_RSRC2:TGID_X_EN: 1
; COMPUTE_PGM_RSRC2:TGID_Y_EN: 0
; COMPUTE_PGM_RSRC2:TGID_Z_EN: 0
; COMPUTE_PGM_RSRC2:TIDIG_COMP_CNT: 0
	.text
	.p2alignl 6, 3214868480
	.fill 48, 4, 3214868480
	.type	__hip_cuid_90cf5f2155caf88c,@object ; @__hip_cuid_90cf5f2155caf88c
	.section	.bss,"aw",@nobits
	.globl	__hip_cuid_90cf5f2155caf88c
__hip_cuid_90cf5f2155caf88c:
	.byte	0                               ; 0x0
	.size	__hip_cuid_90cf5f2155caf88c, 1

	.ident	"AMD clang version 19.0.0git (https://github.com/RadeonOpenCompute/llvm-project roc-6.4.0 25133 c7fe45cf4b819c5991fe208aaa96edf142730f1d)"
	.section	".note.GNU-stack","",@progbits
	.addrsig
	.addrsig_sym __hip_cuid_90cf5f2155caf88c
	.amdgpu_metadata
---
amdhsa.kernels:
  - .args:
      - .actual_access:  read_only
        .address_space:  global
        .offset:         0
        .size:           8
        .value_kind:     global_buffer
      - .offset:         8
        .size:           8
        .value_kind:     by_value
      - .actual_access:  read_only
        .address_space:  global
        .offset:         16
        .size:           8
        .value_kind:     global_buffer
      - .actual_access:  read_only
        .address_space:  global
        .offset:         24
        .size:           8
        .value_kind:     global_buffer
      - .offset:         32
        .size:           8
        .value_kind:     by_value
      - .actual_access:  read_only
        .address_space:  global
        .offset:         40
        .size:           8
        .value_kind:     global_buffer
      - .actual_access:  read_only
        .address_space:  global
        .offset:         48
        .size:           8
        .value_kind:     global_buffer
      - .offset:         56
        .size:           4
        .value_kind:     by_value
      - .actual_access:  read_only
        .address_space:  global
        .offset:         64
        .size:           8
        .value_kind:     global_buffer
      - .actual_access:  read_only
        .address_space:  global
        .offset:         72
        .size:           8
        .value_kind:     global_buffer
      - .address_space:  global
        .offset:         80
        .size:           8
        .value_kind:     global_buffer
    .group_segment_fixed_size: 0
    .kernarg_segment_align: 8
    .kernarg_segment_size: 88
    .language:       OpenCL C
    .language_version:
      - 2
      - 0
    .max_flat_workgroup_size: 55
    .name:           fft_rtc_back_len1925_factors_7_11_5_5_wgs_55_tpt_55_halfLds_sp_ip_CI_unitstride_sbrr_dirReg
    .private_segment_fixed_size: 0
    .sgpr_count:     23
    .sgpr_spill_count: 0
    .symbol:         fft_rtc_back_len1925_factors_7_11_5_5_wgs_55_tpt_55_halfLds_sp_ip_CI_unitstride_sbrr_dirReg.kd
    .uniform_work_group_size: 1
    .uses_dynamic_stack: false
    .vgpr_count:     197
    .vgpr_spill_count: 0
    .wavefront_size: 32
    .workgroup_processor_mode: 1
amdhsa.target:   amdgcn-amd-amdhsa--gfx1030
amdhsa.version:
  - 1
  - 2
...

	.end_amdgpu_metadata
